;; amdgpu-corpus repo=ROCm/rocFFT kind=compiled arch=gfx1201 opt=O3
	.text
	.amdgcn_target "amdgcn-amd-amdhsa--gfx1201"
	.amdhsa_code_object_version 6
	.protected	bluestein_single_back_len1836_dim1_half_op_CI_CI ; -- Begin function bluestein_single_back_len1836_dim1_half_op_CI_CI
	.globl	bluestein_single_back_len1836_dim1_half_op_CI_CI
	.p2align	8
	.type	bluestein_single_back_len1836_dim1_half_op_CI_CI,@function
bluestein_single_back_len1836_dim1_half_op_CI_CI: ; @bluestein_single_back_len1836_dim1_half_op_CI_CI
; %bb.0:
	s_load_b128 s[4:7], s[0:1], 0x28
	v_mul_u32_u24_e32 v1, 0x1ad, v0
	s_mov_b32 s2, exec_lo
	v_mov_b32_e32 v9, 0
	s_delay_alu instid0(VALU_DEP_2) | instskip(NEXT) | instid1(VALU_DEP_1)
	v_lshrrev_b32_e32 v1, 16, v1
	v_add_nc_u32_e32 v8, ttmp9, v1
	s_wait_kmcnt 0x0
	s_delay_alu instid0(VALU_DEP_1)
	v_cmpx_gt_u64_e64 s[4:5], v[8:9]
	s_cbranch_execz .LBB0_15
; %bb.1:
	s_clause 0x1
	s_load_b64 s[12:13], s[0:1], 0x0
	s_load_b64 s[14:15], s[0:1], 0x38
	v_mul_lo_u16 v1, 0x99, v1
	s_delay_alu instid0(VALU_DEP_1) | instskip(NEXT) | instid1(VALU_DEP_1)
	v_sub_nc_u16 v0, v0, v1
	v_and_b32_e32 v42, 0xffff, v0
	v_cmp_gt_u16_e32 vcc_lo, 0x6c, v0
	s_delay_alu instid0(VALU_DEP_2)
	v_lshlrev_b32_e32 v41, 2, v42
	s_and_saveexec_b32 s3, vcc_lo
	s_cbranch_execz .LBB0_3
; %bb.2:
	s_load_b64 s[4:5], s[0:1], 0x18
	s_delay_alu instid0(VALU_DEP_1)
	v_add_nc_u32_e32 v37, 0x800, v41
	v_add_nc_u32_e32 v39, 0x1000, v41
	;; [unrolled: 1-line block ×3, first 2 shown]
	s_wait_kmcnt 0x0
	s_load_b128 s[8:11], s[4:5], 0x0
	s_wait_kmcnt 0x0
	v_mad_co_u64_u32 v[0:1], null, s10, v8, 0
	v_mad_co_u64_u32 v[2:3], null, s8, v42, 0
	s_mul_u64 s[4:5], s[8:9], 0x1b0
	s_delay_alu instid0(VALU_DEP_1) | instskip(NEXT) | instid1(VALU_DEP_2)
	v_mad_co_u64_u32 v[4:5], null, s11, v8, v[1:2]
	v_mov_b32_e32 v1, v3
	s_delay_alu instid0(VALU_DEP_1) | instskip(NEXT) | instid1(VALU_DEP_3)
	v_mad_co_u64_u32 v[5:6], null, s9, v42, v[1:2]
	v_mov_b32_e32 v1, v4
	s_clause 0x7
	global_load_b32 v4, v41, s[12:13]
	global_load_b32 v6, v41, s[12:13] offset:432
	global_load_b32 v7, v41, s[12:13] offset:864
	;; [unrolled: 1-line block ×7, first 2 shown]
	v_lshlrev_b64_e32 v[0:1], 2, v[0:1]
	v_mov_b32_e32 v3, v5
	s_clause 0x8
	global_load_b32 v5, v41, s[12:13] offset:3456
	global_load_b32 v14, v41, s[12:13] offset:3888
	global_load_b32 v15, v41, s[12:13] offset:4320
	global_load_b32 v16, v41, s[12:13] offset:4752
	global_load_b32 v17, v41, s[12:13] offset:5184
	global_load_b32 v18, v41, s[12:13] offset:5616
	global_load_b32 v19, v41, s[12:13] offset:6048
	global_load_b32 v20, v41, s[12:13] offset:6480
	global_load_b32 v21, v41, s[12:13] offset:6912
	v_lshlrev_b64_e32 v[2:3], 2, v[2:3]
	v_add_co_u32 v0, s2, s6, v0
	s_delay_alu instid0(VALU_DEP_1) | instskip(NEXT) | instid1(VALU_DEP_2)
	v_add_co_ci_u32_e64 v1, s2, s7, v1, s2
	v_add_co_u32 v0, s2, v0, v2
	s_wait_alu 0xf1ff
	s_delay_alu instid0(VALU_DEP_2) | instskip(SKIP_1) | instid1(VALU_DEP_2)
	v_add_co_ci_u32_e64 v1, s2, v1, v3, s2
	s_wait_alu 0xfffe
	v_add_co_u32 v2, s2, v0, s4
	s_wait_alu 0xf1ff
	s_delay_alu instid0(VALU_DEP_2)
	v_add_co_ci_u32_e64 v3, s2, s5, v1, s2
	s_clause 0x1
	global_load_b32 v22, v[0:1], off
	global_load_b32 v23, v[2:3], off
	v_add_co_u32 v0, s2, v2, s4
	s_wait_alu 0xf1ff
	v_add_co_ci_u32_e64 v1, s2, s5, v3, s2
	s_delay_alu instid0(VALU_DEP_2) | instskip(SKIP_1) | instid1(VALU_DEP_2)
	v_add_co_u32 v2, s2, v0, s4
	s_wait_alu 0xf1ff
	v_add_co_ci_u32_e64 v3, s2, s5, v1, s2
	s_clause 0x1
	global_load_b32 v24, v[0:1], off
	global_load_b32 v25, v[2:3], off
	v_add_co_u32 v0, s2, v2, s4
	s_wait_alu 0xf1ff
	v_add_co_ci_u32_e64 v1, s2, s5, v3, s2
	s_delay_alu instid0(VALU_DEP_2) | instskip(SKIP_1) | instid1(VALU_DEP_2)
	v_add_co_u32 v2, s2, v0, s4
	s_wait_alu 0xf1ff
	v_add_co_ci_u32_e64 v3, s2, s5, v1, s2
	global_load_b32 v26, v[0:1], off
	global_load_b32 v27, v[2:3], off
	v_add_co_u32 v0, s2, v2, s4
	s_wait_alu 0xf1ff
	v_add_co_ci_u32_e64 v1, s2, s5, v3, s2
	s_delay_alu instid0(VALU_DEP_2) | instskip(SKIP_1) | instid1(VALU_DEP_2)
	v_add_co_u32 v2, s2, v0, s4
	s_wait_alu 0xf1ff
	v_add_co_ci_u32_e64 v3, s2, s5, v1, s2
	global_load_b32 v28, v[0:1], off
	v_add_co_u32 v0, s2, v2, s4
	s_wait_alu 0xf1ff
	v_add_co_ci_u32_e64 v1, s2, s5, v3, s2
	global_load_b32 v29, v[2:3], off
	global_load_b32 v30, v[0:1], off
	v_add_co_u32 v0, s2, v0, s4
	s_wait_alu 0xf1ff
	v_add_co_ci_u32_e64 v1, s2, s5, v1, s2
	s_delay_alu instid0(VALU_DEP_2) | instskip(SKIP_1) | instid1(VALU_DEP_2)
	v_add_co_u32 v2, s2, v0, s4
	s_wait_alu 0xf1ff
	v_add_co_ci_u32_e64 v3, s2, s5, v1, s2
	global_load_b32 v31, v[0:1], off
	v_add_co_u32 v0, s2, v2, s4
	s_wait_alu 0xf1ff
	v_add_co_ci_u32_e64 v1, s2, s5, v3, s2
	global_load_b32 v32, v[2:3], off
	global_load_b32 v33, v[0:1], off
	v_add_co_u32 v0, s2, v0, s4
	s_wait_alu 0xf1ff
	v_add_co_ci_u32_e64 v1, s2, s5, v1, s2
	s_delay_alu instid0(VALU_DEP_2) | instskip(SKIP_1) | instid1(VALU_DEP_2)
	v_add_co_u32 v2, s2, v0, s4
	s_wait_alu 0xf1ff
	v_add_co_ci_u32_e64 v3, s2, s5, v1, s2
	global_load_b32 v34, v[0:1], off
	v_add_co_u32 v0, s2, v2, s4
	s_wait_alu 0xf1ff
	v_add_co_ci_u32_e64 v1, s2, s5, v3, s2
	global_load_b32 v35, v[2:3], off
	v_add_co_u32 v2, s2, v0, s4
	s_wait_alu 0xf1ff
	v_add_co_ci_u32_e64 v3, s2, s5, v1, s2
	global_load_b32 v36, v[0:1], off
	;; [unrolled: 4-line block ×3, first 2 shown]
	global_load_b32 v0, v[0:1], off
	v_add_nc_u32_e32 v1, 0x200, v41
	v_add_nc_u32_e32 v3, 0x600, v41
	s_wait_loadcnt 0x21
	v_lshrrev_b32_e32 v40, 16, v4
	s_wait_loadcnt 0x20
	v_lshrrev_b32_e32 v43, 16, v6
	s_wait_loadcnt 0x1f
	v_lshrrev_b32_e32 v44, 16, v7
	s_wait_loadcnt 0x1e
	v_lshrrev_b32_e32 v45, 16, v9
	s_wait_loadcnt 0x1d
	v_lshrrev_b32_e32 v46, 16, v10
	s_wait_loadcnt 0x1c
	v_lshrrev_b32_e32 v47, 16, v11
	s_wait_loadcnt 0x1b
	v_lshrrev_b32_e32 v48, 16, v12
	s_wait_loadcnt 0x1a
	v_lshrrev_b32_e32 v49, 16, v13
	s_wait_loadcnt 0x19
	v_lshrrev_b32_e32 v50, 16, v5
	s_wait_loadcnt 0x18
	v_lshrrev_b32_e32 v51, 16, v14
	s_wait_loadcnt 0x17
	v_lshrrev_b32_e32 v52, 16, v15
	s_wait_loadcnt 0x16
	v_lshrrev_b32_e32 v53, 16, v16
	s_wait_loadcnt 0x15
	v_lshrrev_b32_e32 v54, 16, v17
	s_wait_loadcnt 0x14
	v_lshrrev_b32_e32 v56, 16, v18
	s_wait_loadcnt 0x13
	v_lshrrev_b32_e32 v57, 16, v19
	s_wait_loadcnt 0x12
	v_lshrrev_b32_e32 v58, 16, v20
	s_wait_loadcnt 0x11
	v_lshrrev_b32_e32 v61, 16, v21
	s_wait_loadcnt 0x10
	v_lshrrev_b32_e32 v55, 16, v22
	v_mul_f16_e32 v59, v40, v22
	s_wait_loadcnt 0xf
	v_lshrrev_b32_e32 v60, 16, v23
	v_mul_f16_e32 v62, v43, v23
	v_mul_f16_e32 v40, v40, v55
	v_fma_f16 v55, v4, v55, -v59
	s_delay_alu instid0(VALU_DEP_2)
	v_fmac_f16_e32 v40, v4, v22
	v_mul_f16_e32 v4, v43, v60
	v_fma_f16 v43, v6, v60, -v62
	s_wait_loadcnt 0xe
	v_lshrrev_b32_e32 v22, 16, v24
	v_mul_f16_e32 v59, v44, v24
	v_fmac_f16_e32 v4, v6, v23
	s_wait_loadcnt 0xd
	v_lshrrev_b32_e32 v23, 16, v25
	v_pack_b32_f16 v40, v40, v55
	v_mul_f16_e32 v6, v44, v22
	v_mul_f16_e32 v44, v45, v25
	v_fma_f16 v22, v7, v22, -v59
	v_pack_b32_f16 v4, v4, v43
	s_delay_alu instid0(VALU_DEP_4)
	v_fmac_f16_e32 v6, v7, v24
	v_mul_f16_e32 v7, v45, v23
	s_wait_loadcnt 0xc
	v_lshrrev_b32_e32 v24, 16, v26
	v_fma_f16 v23, v9, v23, -v44
	v_mul_f16_e32 v43, v46, v26
	ds_store_2addr_b32 v41, v40, v4 offset1:108
	v_pack_b32_f16 v4, v6, v22
	v_fmac_f16_e32 v7, v9, v25
	v_mul_f16_e32 v6, v46, v24
	s_wait_loadcnt 0xb
	v_lshrrev_b32_e32 v9, 16, v27
	v_mul_f16_e32 v22, v47, v27
	v_fma_f16 v24, v10, v24, -v43
	v_pack_b32_f16 v7, v7, v23
	v_fmac_f16_e32 v6, v10, v26
	v_mul_f16_e32 v10, v47, v9
	v_fma_f16 v9, v11, v9, -v22
	s_wait_loadcnt 0xa
	v_lshrrev_b32_e32 v22, 16, v28
	v_mul_f16_e32 v23, v48, v28
	ds_store_2addr_b32 v1, v4, v7 offset0:88 offset1:196
	v_pack_b32_f16 v1, v6, v24
	v_fmac_f16_e32 v10, v11, v27
	v_mul_f16_e32 v4, v48, v22
	s_wait_loadcnt 0x9
	v_lshrrev_b32_e32 v6, 16, v29
	v_mul_f16_e32 v7, v49, v29
	v_fma_f16 v11, v12, v22, -v23
	v_pack_b32_f16 v9, v10, v9
	v_fmac_f16_e32 v4, v12, v28
	v_mul_f16_e32 v10, v49, v6
	v_fma_f16 v6, v13, v6, -v7
	s_wait_loadcnt 0x8
	v_lshrrev_b32_e32 v7, 16, v30
	v_mul_f16_e32 v12, v50, v30
	ds_store_2addr_b32 v3, v1, v9 offset0:48 offset1:156
	;; [unrolled: 15-line block ×3, first 2 shown]
	v_fmac_f16_e32 v5, v14, v31
	s_wait_loadcnt 0x5
	v_lshrrev_b32_e32 v6, 16, v33
	v_pack_b32_f16 v1, v3, v7
	v_mul_f16_e32 v3, v52, v9
	v_fma_f16 v7, v15, v9, -v10
	v_mul_f16_e32 v9, v53, v33
	v_pack_b32_f16 v4, v5, v4
	v_mul_f16_e32 v5, v53, v6
	v_fmac_f16_e32 v3, v15, v32
	s_wait_loadcnt 0x4
	v_lshrrev_b32_e32 v10, 16, v34
	v_fma_f16 v6, v16, v6, -v9
	v_mul_f16_e32 v9, v54, v34
	v_fmac_f16_e32 v5, v16, v33
	s_wait_loadcnt 0x3
	v_lshrrev_b32_e32 v11, 16, v35
	v_pack_b32_f16 v3, v3, v7
	v_mul_f16_e32 v7, v54, v10
	v_fma_f16 v9, v17, v10, -v9
	v_mul_f16_e32 v10, v56, v35
	v_pack_b32_f16 v5, v5, v6
	v_mul_f16_e32 v6, v56, v11
	v_fmac_f16_e32 v7, v17, v34
	s_wait_loadcnt 0x2
	v_lshrrev_b32_e32 v12, 16, v36
	v_fma_f16 v10, v18, v11, -v10
	v_mul_f16_e32 v11, v57, v36
	v_fmac_f16_e32 v6, v18, v35
	s_wait_loadcnt 0x1
	v_lshrrev_b32_e32 v13, 16, v2
	s_wait_loadcnt 0x0
	v_lshrrev_b32_e32 v14, 16, v0
	v_pack_b32_f16 v7, v7, v9
	v_mul_f16_e32 v9, v57, v12
	v_fma_f16 v11, v19, v12, -v11
	v_mul_f16_e32 v12, v58, v2
	v_pack_b32_f16 v6, v6, v10
	v_mul_f16_e32 v10, v58, v13
	v_mul_f16_e32 v15, v61, v14
	;; [unrolled: 1-line block ×3, first 2 shown]
	v_fmac_f16_e32 v9, v19, v36
	v_fma_f16 v12, v20, v13, -v12
	v_fmac_f16_e32 v10, v20, v2
	v_fmac_f16_e32 v15, v21, v0
	v_fma_f16 v0, v21, v14, -v16
	v_add_nc_u32_e32 v2, 0x1400, v41
	v_pack_b32_f16 v9, v9, v11
	v_pack_b32_f16 v10, v10, v12
	v_add_nc_u32_e32 v11, 0x1600, v41
	v_pack_b32_f16 v0, v15, v0
	ds_store_2addr_b32 v38, v1, v4 offset0:96 offset1:204
	ds_store_2addr_b32 v39, v3, v5 offset0:56 offset1:164
	;; [unrolled: 1-line block ×4, first 2 shown]
	ds_store_b32 v41, v0 offset:6912
.LBB0_3:
	s_or_b32 exec_lo, exec_lo, s3
	s_clause 0x1
	s_load_b64 s[2:3], s[0:1], 0x20
	s_load_b64 s[0:1], s[0:1], 0x8
	v_mov_b32_e32 v4, 0
	global_wb scope:SCOPE_SE
	s_wait_dscnt 0x0
	s_wait_kmcnt 0x0
	s_barrier_signal -1
	s_barrier_wait -1
	global_inv scope:SCOPE_SE
                                        ; implicit-def: $vgpr21
                                        ; implicit-def: $vgpr1
                                        ; implicit-def: $vgpr3
                                        ; implicit-def: $vgpr7
                                        ; implicit-def: $vgpr14
                                        ; implicit-def: $vgpr18
                                        ; implicit-def: $vgpr16
                                        ; implicit-def: $vgpr20
                                        ; implicit-def: $vgpr44
                                        ; kill: def $vgpr0 killed $sgpr0 killed $exec
	s_and_saveexec_b32 s4, vcc_lo
	s_cbranch_execz .LBB0_5
; %bb.4:
	v_add_nc_u32_e32 v0, 0x200, v41
	v_add_nc_u32_e32 v1, 0x600, v41
	;; [unrolled: 1-line block ×3, first 2 shown]
	ds_load_2addr_b32 v[4:5], v41 offset1:108
	v_add_nc_u32_e32 v3, 0x1400, v41
	ds_load_2addr_b32 v[19:20], v0 offset0:88 offset1:196
	ds_load_2addr_b32 v[15:16], v1 offset0:48 offset1:156
	v_add_nc_u32_e32 v0, 0xc00, v41
	v_add_nc_u32_e32 v1, 0x1000, v41
	;; [unrolled: 1-line block ×3, first 2 shown]
	ds_load_2addr_b32 v[17:18], v2 offset0:136 offset1:244
	ds_load_2addr_b32 v[13:14], v0 offset0:96 offset1:204
	;; [unrolled: 1-line block ×5, first 2 shown]
	ds_load_b32 v21, v41 offset:6912
	s_wait_dscnt 0x7
	v_alignbit_b32 v44, v19, v19, 16
.LBB0_5:
	s_wait_alu 0xfffe
	s_or_b32 exec_lo, exec_lo, s4
	s_wait_dscnt 0x0
	v_pk_add_f16 v19, v5, v21 neg_lo:[0,1] neg_hi:[0,1]
	v_pk_add_f16 v24, v44, v1 op_sel:[1,0] op_sel_hi:[0,1] neg_lo:[0,1] neg_hi:[0,1]
	v_pk_add_f16 v23, v21, v5
	v_pk_add_f16 v22, v1, v44 op_sel:[1,0] op_sel_hi:[0,1]
	v_pk_add_f16 v25, v20, v0 neg_lo:[0,1] neg_hi:[0,1]
	v_lshrrev_b32_e32 v92, 16, v19
	v_lshrrev_b32_e32 v91, 16, v24
	v_pk_add_f16 v26, v0, v20
	v_lshrrev_b32_e32 v60, 16, v22
	v_lshrrev_b32_e32 v106, 16, v25
	v_mul_f16_e32 v57, 0xbbf7, v92
	v_mul_f16_e32 v59, 0xb1e1, v91
	;; [unrolled: 1-line block ×5, first 2 shown]
	v_fmamk_f16 v10, v23, 0x2de8, v57
	v_fmamk_f16 v27, v60, 0xbbdd, v59
	;; [unrolled: 1-line block ×4, first 2 shown]
	v_mul_f16_e32 v69, 0x3836, v91
	v_add_f16_e32 v10, v10, v4
	v_mul_f16_e32 v63, 0x3bb2, v106
	v_add_f16_e32 v9, v9, v4
	v_add_f16_e32 v11, v11, v4
	v_fmamk_f16 v12, v60, 0xb8d2, v39
	v_add_f16_e32 v10, v27, v10
	v_pk_add_f16 v27, v15, v3 neg_lo:[0,1] neg_hi:[0,1]
	v_fmamk_f16 v28, v60, 0xbacd, v69
	v_mul_f16_e32 v55, 0x31e1, v106
	v_fmamk_f16 v31, v26, 0xb461, v63
	v_add_f16_e32 v9, v12, v9
	v_lshrrev_b32_e32 v113, 16, v27
	v_add_f16_e32 v11, v28, v11
	v_mul_f16_e32 v72, 0x3964, v106
	v_pk_add_f16 v28, v3, v15
	v_fmamk_f16 v12, v26, 0xbbdd, v55
	v_mul_f16_e32 v56, 0x3bb2, v113
	v_add_f16_e32 v10, v31, v10
	v_pk_add_f16 v31, v16, v2 neg_lo:[0,1] neg_hi:[0,1]
	v_fmamk_f16 v33, v26, 0x39e9, v72
	v_add_f16_e32 v9, v12, v9
	v_fmamk_f16 v12, v28, 0xb461, v56
	v_mul_f16_e32 v65, 0x35c8, v113
	v_mul_f16_e32 v74, 0xbb29, v113
	v_lshrrev_b32_e32 v116, 16, v31
	v_pk_add_f16 v35, v17, v7 neg_lo:[0,1] neg_hi:[0,1]
	v_pk_mul_f16 v45, 0x3b7639e9, v23
	v_add_f16_e32 v11, v33, v11
	v_pk_add_f16 v33, v2, v16
	v_add_f16_e32 v9, v12, v9
	v_fmamk_f16 v12, v28, 0x3b76, v65
	v_fmamk_f16 v36, v28, 0x3722, v74
	v_mul_f16_e32 v58, 0x3964, v116
	v_lshrrev_b32_e32 v124, 16, v35
	v_pk_mul_f16 v46, 0xbbf7b964, v24
	v_pk_fma_f16 v29, 0xb964b5c8, v19, v45 op_sel:[0,0,1] op_sel_hi:[1,1,0]
	v_add_f16_e32 v10, v12, v10
	v_add_f16_e32 v11, v36, v11
	v_mul_f16_e32 v71, 0xbb29, v116
	v_fmamk_f16 v12, v33, 0x39e9, v58
	v_mul_f16_e32 v79, 0xb1e1, v116
	v_pk_add_f16 v36, v7, v17
	v_mul_f16_e32 v61, 0xb5c8, v124
	v_pk_fma_f16 v30, 0x2de839e9, v22, v46
	v_pk_mul_f16 v47, 0x3722b8d2, v26
	v_fmamk_f16 v40, v33, 0x3722, v71
	v_add_f16_e32 v9, v12, v9
	v_fmamk_f16 v12, v33, 0xbbdd, v79
	v_fmamk_f16 v51, v36, 0x3b76, v61
	v_lshrrev_b32_e32 v52, 16, v29
	v_pk_fma_f16 v34, 0xba62bb29, v25, v47 op_sel:[0,0,1] op_sel_hi:[1,1,0]
	v_pk_mul_f16 v48, 0x2de8bbdd, v28
	v_add_f16_e32 v10, v40, v10
	v_add_f16_e32 v11, v12, v11
	;; [unrolled: 1-line block ×3, first 2 shown]
	v_pk_add_f16 v40, v18, v6 neg_lo:[0,1] neg_hi:[0,1]
	v_add_f16_e32 v12, v52, v4
	v_lshrrev_b32_e32 v51, 16, v30
	v_pk_fma_f16 v37, 0xb1e1bbf7, v27, v48 op_sel:[0,0,1] op_sel_hi:[1,1,0]
	v_pk_mul_f16 v49, 0xb461bacd, v33
	v_mul_f16_e32 v76, 0xb836, v124
	v_mul_f16_e32 v96, 0x3bf7, v124
	v_lshrrev_b32_e32 v138, 16, v40
	v_add_f16_e32 v12, v51, v12
	v_lshrrev_b32_e32 v51, 16, v34
	v_pk_fma_f16 v43, 0x3836bbb2, v31, v49 op_sel:[0,0,1] op_sel_hi:[1,1,0]
	v_pk_mul_f16 v50, 0xb8d2b461, v36
	v_pk_add_f16 v52, v6, v18
	v_fmamk_f16 v53, v36, 0xbacd, v76
	v_fmamk_f16 v54, v36, 0x2de8, v96
	v_mul_f16_e64 v68, 0xbbf7, v138
	v_add_f16_e32 v12, v51, v12
	v_lshrrev_b32_e32 v51, 16, v37
	v_pk_fma_f16 v62, 0x3bb2ba62, v35, v50 op_sel:[0,0,1] op_sel_hi:[1,1,0]
	v_pk_mul_f16 v108, 0xbacd3722, v52
	v_add_f16_e32 v10, v53, v10
	v_fmamk_f16 v53, v52, 0x2de8, v68
	v_add_f16_e32 v11, v54, v11
	v_add_f16_e32 v12, v51, v12
	v_lshrrev_b32_e32 v51, 16, v43
	v_pk_add_f16 v54, v14, v13
	v_pk_fma_f16 v64, 0x3b29b836, v40, v108 op_sel:[0,0,1] op_sel_hi:[1,1,0]
	v_add_f16_e32 v9, v53, v9
	v_mul_f16_e64 v77, 0x3a62, v138
	v_pk_add_f16 v53, v13, v14 neg_lo:[0,1] neg_hi:[0,1]
	v_add_f16_e32 v12, v51, v12
	v_lshrrev_b32_e32 v51, 16, v62
	v_pk_mul_f16 v110, 0xbbdd3b76, v54
	v_fmamk_f16 v73, v52, 0xb8d2, v77
	v_lshrrev_b32_e32 v141, 16, v53
	v_mul_f16_e64 v97, 0xb5c8, v138
	v_add_f16_e32 v12, v51, v12
	v_lshrrev_b32_e32 v51, 16, v64
	v_pk_fma_f16 v67, 0x35c8b1e1, v53, v110 op_sel:[0,0,1] op_sel_hi:[1,1,0]
	v_mul_f16_e64 v70, 0xb836, v141
	v_add_f16_e32 v73, v73, v10
	v_fmamk_f16 v10, v52, 0x3b76, v97
	v_add_f16_e32 v12, v51, v12
	v_lshrrev_b32_e32 v51, 16, v67
	v_mul_f16_e64 v81, 0x3964, v141
	v_mul_f16_e32 v32, 0xb5c8, v92
	v_fmamk_f16 v75, v54, 0xbacd, v70
	v_add_f16_e32 v11, v10, v11
	v_add_f16_e32 v10, v51, v12
	v_fmamk_f16 v12, v54, 0x39e9, v81
	v_mul_f16_e64 v104, 0xba62, v141
	v_add_f16_e32 v9, v75, v9
	v_fmamk_f16 v75, v23, 0x3b76, v32
	v_lshrrev_b32_e32 v117, 16, v23
	v_mul_f16_e32 v83, 0xb964, v19
	v_add_f16_e32 v12, v12, v73
	v_mul_f16_e32 v73, 0xb964, v91
	v_fmamk_f16 v51, v54, 0xb8d2, v104
	v_add_f16_e32 v75, v75, v4
	v_lshrrev_b32_e32 v82, 16, v4
	v_fma_f16 v78, v117, 0x39e9, -v83
	v_mul_f16_e32 v84, 0xbbf7, v24
	v_fmamk_f16 v80, v60, 0x39e9, v73
	v_mul_f16_e32 v94, 0xbb29, v19
	v_add_f16_e32 v11, v51, v11
	v_add_f16_e32 v51, v78, v82
	v_fma_f16 v78, v22, 0x2de8, -v84
	v_add_f16_e32 v85, v80, v75
	v_fma_f16 v75, v117, 0x3722, -v94
	v_mul_f16_e32 v95, 0xba62, v24
	v_mul_f16_e32 v120, 0xbbf7, v19
	v_mul_f16_e64 v133, 0xbbb2, v19
	v_add_f16_e32 v51, v78, v51
	v_add_f16_e32 v75, v75, v82
	v_fma_f16 v78, v22, 0xb8d2, -v95
	v_fma_f16 v80, v117, 0x2de8, -v120
	v_mul_f16_e32 v122, 0xb1e1, v24
	v_fma_f16 v86, v117, 0xb461, -v133
	v_mul_f16_e64 v134, 0x3836, v24
	v_add_f16_e32 v78, v78, v75
	v_add_f16_e32 v87, v80, v82
	v_fma_f16 v88, v22, 0xbbdd, -v122
	v_add_f16_e32 v86, v86, v82
	v_fma_f16 v89, v22, 0xbacd, -v134
	v_mul_f16_e32 v75, 0xbb29, v106
	v_lshrrev_b32_e32 v119, 16, v26
	v_mul_f16_e32 v80, 0xba62, v25
	v_mul_f16_e32 v101, 0x31e1, v25
	v_add_f16_e32 v87, v88, v87
	v_add_f16_e32 v88, v89, v86
	v_fmamk_f16 v86, v26, 0x3722, v75
	v_fma_f16 v89, v119, 0xb8d2, -v80
	v_fma_f16 v90, v119, 0xbbdd, -v101
	v_mul_f16_e32 v125, 0x3bb2, v25
	v_mul_f16_e64 v136, 0x3964, v25
	v_add_f16_e32 v85, v86, v85
	v_add_f16_e32 v51, v89, v51
	;; [unrolled: 1-line block ×3, first 2 shown]
	v_fma_f16 v90, v119, 0xb461, -v125
	v_fma_f16 v93, v119, 0x39e9, -v136
	v_mul_f16_e32 v78, 0xbbf7, v113
	v_lshrrev_b32_e32 v121, 16, v28
	v_mul_f16_e32 v86, 0xb1e1, v27
	v_mul_f16_e32 v109, 0x3bb2, v27
	v_add_f16_e32 v87, v90, v87
	v_add_f16_e32 v90, v93, v88
	v_fmamk_f16 v88, v28, 0x2de8, v78
	v_fma_f16 v93, v121, 0xbbdd, -v86
	v_fma_f16 v98, v121, 0xb461, -v109
	v_mul_f16_e64 v128, 0x35c8, v27
	v_mul_f16_e64 v137, 0xbb29, v27
	v_add_f16_e32 v99, v88, v85
	v_add_f16_e32 v51, v93, v51
	;; [unrolled: 1-line block ×3, first 2 shown]
	v_fma_f16 v93, v121, 0x3b76, -v128
	v_fma_f16 v98, v121, 0x3722, -v137
	v_mul_f16_e32 v85, 0xbbb2, v116
	v_lshrrev_b32_e32 v123, 16, v33
	v_mul_f16_e32 v112, 0x3964, v31
	v_mul_f16_e64 v139, 0xb1e1, v31
	v_add_f16_e32 v93, v93, v87
	v_fmamk_f16 v87, v33, 0xb461, v85
	v_add_f16_e32 v98, v98, v90
	v_fma_f16 v100, v123, 0x39e9, -v112
	v_fma_f16 v102, v123, 0xbbdd, -v139
	v_lshrrev_b32_e32 v126, 16, v36
	v_mul_f16_e32 v114, 0xb5c8, v35
	v_mul_f16_e32 v88, 0x3836, v31
	v_add_f16_e32 v99, v87, v99
	v_add_f16_e32 v89, v100, v89
	v_mul_f16_e32 v87, 0xba62, v124
	v_add_f16_e32 v98, v102, v98
	v_fma_f16 v102, v126, 0x3b76, -v114
	v_fma_f16 v90, v123, 0xbacd, -v88
	v_mul_f16_e64 v130, 0xbb29, v31
	v_fmamk_f16 v103, v36, 0xb8d2, v87
	v_mul_f16_e64 v131, 0xb836, v35
	v_add_f16_e32 v102, v102, v89
	v_mul_f16_e64 v89, 0xb836, v138
	v_add_f16_e32 v51, v90, v51
	v_fma_f16 v100, v123, 0x3722, -v130
	v_mul_f16_e32 v90, 0x3bb2, v35
	v_add_f16_e32 v99, v103, v99
	v_fmamk_f16 v107, v52, 0xbacd, v89
	v_mul_f16_e64 v142, 0x3bf7, v35
	v_add_f16_e32 v100, v100, v93
	v_fma_f16 v93, v126, 0xb461, -v90
	v_fma_f16 v103, v126, 0xbacd, -v131
	v_lshrrev_b32_e32 v127, 16, v52
	v_mul_f16_e32 v115, 0xbbf7, v40
	v_add_f16_e32 v107, v107, v99
	v_pk_fma_f16 v99, 0xb964b5c8, v19, v45 op_sel:[0,0,1] op_sel_hi:[1,1,0] neg_lo:[0,1,0] neg_hi:[0,1,0]
	v_add_f16_e32 v51, v93, v51
	v_fma_f16 v105, v126, 0x2de8, -v142
	v_mul_f16_e32 v93, 0x3b29, v40
	v_add_f16_e32 v103, v103, v100
	v_fma_f16 v45, v127, 0x2de8, -v115
	v_mul_f16_e64 v135, 0x3a62, v40
	v_pk_fma_f16 v100, 0x2de839e9, v22, v46 neg_lo:[0,0,1] neg_hi:[0,0,1]
	v_add_f16_e32 v46, v99, v82
	v_add_f16_e32 v118, v105, v98
	v_fma_f16 v98, v127, 0x3722, -v93
	v_add_f16_e32 v45, v45, v102
	v_fma_f16 v105, v127, 0xb8d2, -v135
	v_pk_fma_f16 v102, 0xba62bb29, v25, v47 op_sel:[0,0,1] op_sel_hi:[1,1,0] neg_lo:[0,1,0] neg_hi:[0,1,0]
	v_add_f16_e32 v46, v100, v46
	v_add_f16_e32 v51, v98, v51
	v_mul_f16_e64 v98, 0xb1e1, v141
	v_add_f16_e32 v47, v105, v103
	v_pk_fma_f16 v103, 0xb1e1bbf7, v27, v48 op_sel:[0,0,1] op_sel_hi:[1,1,0] neg_lo:[0,1,0] neg_hi:[0,1,0]
	v_add_f16_e32 v46, v102, v46
	v_mul_f16_e64 v144, 0xb5c8, v40
	v_fmamk_f16 v48, v54, 0xbbdd, v98
	v_pk_fma_f16 v105, 0x3836bbb2, v31, v49 op_sel:[0,0,1] op_sel_hi:[1,1,0] neg_lo:[0,1,0] neg_hi:[0,1,0]
	v_lshrrev_b32_e32 v132, 16, v54
	v_add_f16_e32 v49, v103, v46
	v_fma_f16 v129, v127, 0x3b76, -v144
	v_add_f16_e32 v46, v48, v107
	v_pk_fma_f16 v107, 0x3bb2ba62, v35, v50 op_sel:[0,0,1] op_sel_hi:[1,1,0] neg_lo:[0,1,0] neg_hi:[0,1,0]
	v_mul_f16_e32 v111, 0x35c8, v53
	v_add_f16_e32 v49, v105, v49
	v_add_f16_e64 v129, v129, v118
	v_mul_f16_e32 v118, 0xb836, v53
	v_mul_f16_e64 v140, 0x3964, v53
	v_mul_f16_e64 v143, 0xba62, v53
	v_pk_fma_f16 v108, 0x3b29b836, v40, v108 op_sel:[0,0,1] op_sel_hi:[1,1,0] neg_lo:[0,1,0] neg_hi:[0,1,0]
	v_add_f16_e32 v49, v107, v49
	v_fma_f16 v48, v132, 0x3b76, -v111
	v_fma_f16 v50, v132, 0xbacd, -v118
	;; [unrolled: 1-line block ×4, first 2 shown]
	v_pk_fma_f16 v110, 0x35c8b1e1, v53, v110 op_sel:[0,0,1] op_sel_hi:[1,1,0] neg_lo:[0,1,0] neg_hi:[0,1,0]
	v_add_f16_e64 v147, v108, v49
	v_add_f16_e32 v48, v48, v51
	v_add_f16_e32 v49, v50, v45
	v_add_f16_e64 v50, v145, v47
	v_add_f16_e64 v51, v146, v129
	v_add_f16_e64 v47, v110, v147
	v_mul_lo_u16 v45, v42, 17
	global_wb scope:SCOPE_SE
	s_barrier_signal -1
	s_barrier_wait -1
	global_inv scope:SCOPE_SE
	s_and_saveexec_b32 s4, vcc_lo
	s_cbranch_execz .LBB0_7
; %bb.6:
	v_mul_f16_e64 v145, 0xb8d2, v117
	v_mul_f16_e64 v146, 0xb461, v22
	;; [unrolled: 1-line block ×5, first 2 shown]
	v_fma_f16 v129, 0x3a62, v19, v145
	v_fma_f16 v153, 0xbbb2, v24, v146
	;; [unrolled: 1-line block ×3, first 2 shown]
	v_mul_f16_e64 v150, 0xb5c8, v106
	v_mul_f16_e64 v151, 0xbacd, v121
	v_add_f16_e64 v129, v129, v82
	v_fma_f16 v155, 0xb461, v60, v148
	v_add_f16_e64 v152, v152, v4
	v_fma_f16 v156, 0x35c8, v25, v149
	v_mul_f16_e64 v154, 0xb836, v113
	v_add_f16_e64 v129, v153, v129
	v_mul_f16_e64 v153, 0x2de8, v123
	v_fma_f16 v157, 0x3b76, v26, v150
	v_add_f16_e64 v152, v155, v152
	v_fma_f16 v155, 0x3836, v27, v151
	v_add_f16_e64 v129, v156, v129
	v_mul_f16_e64 v156, 0x3bf7, v116
	v_fma_f16 v158, 0xbacd, v28, v154
	v_add_f16_e64 v152, v157, v152
	v_fma_f16 v157, 0xbbf7, v31, v153
	v_add_f16_e64 v129, v155, v129
	v_mul_f16_e64 v155, 0x39e9, v126
	v_fma_f16 v159, 0x2de8, v33, v156
	v_add_f16_e64 v152, v158, v152
	v_mul_f16_e64 v158, 0xb964, v124
	v_add_f16_e64 v129, v157, v129
	v_fma_f16 v157, 0x3964, v35, v155
	v_mul_f16_e64 v160, 0xbbdd, v127
	v_add_f16_e64 v152, v159, v152
	v_fma_f16 v159, 0x39e9, v36, v158
	;; [unrolled: 3-line block ×15, first 2 shown]
	v_mul_f16_e32 v113, 0x3a62, v113
	v_fmac_f16_e64 v161, 0xb836, v19
	v_add_f16_e32 v91, v106, v91
	v_fma_f16 v106, 0xb964, v40, v159
	v_add_f16_e64 v152, v171, v152
	v_fma_f16 v171, 0xb8d2, v28, v113
	v_mul_f16_e32 v116, 0xb5c8, v116
	v_add_f16_e64 v161, v161, v82
	v_fmac_f16_e64 v163, 0x3b29, v24
	v_add_f16_e32 v91, v106, v91
	v_add_f16_e64 v106, v171, v152
	v_fma_f16 v152, 0x3b76, v33, v116
	v_mul_f16_e32 v124, 0xb1e1, v124
	v_add_f16_e64 v161, v163, v161
	v_fmac_f16_e64 v166, 0xbbf7, v25
	v_mul_f16_e64 v163, 0xb461, v132
	v_add_f16_e64 v106, v152, v106
	v_fma_f16 v152, 0xbbdd, v36, v124
	v_mul_f16_e64 v138, 0x3964, v138
	v_add_f16_e64 v161, v166, v161
	v_fmac_f16_e64 v168, 0x3a62, v27
	v_fma_f16 v166, 0x3bb2, v53, v163
	v_add_f16_e64 v106, v152, v106
	v_fma_f16 v152, 0x39e9, v52, v138
	v_mul_f16_e64 v141, 0xbbb2, v141
	v_add_f16_e64 v161, v168, v161
	v_fmac_f16_e64 v170, 0xb5c8, v31
	v_add_f16_e64 v91, v166, v91
	v_fma_f16 v166, v23, 0xbacd, -v169
	v_add_f16_e64 v106, v152, v106
	v_fma_f16 v152, 0xb461, v54, v141
	v_add_f16_e64 v161, v170, v161
	v_fmac_f16_e64 v165, 0xb1e1, v35
	v_add_f16_e64 v166, v166, v4
	v_fma_f16 v157, v60, 0x3722, -v157
	v_fmac_f16_e64 v145, 0xba62, v19
	v_add_f16_e64 v106, v152, v106
	v_add_f16_e64 v152, v165, v161
	v_fma_f16 v161, v26, 0x2de8, -v172
	v_add_f16_e64 v157, v157, v166
	v_add_f16_e64 v145, v145, v82
	v_fmac_f16_e64 v146, 0x3bb2, v24
	v_fma_f16 v113, v28, 0xb8d2, -v113
	v_fmac_f16_e64 v149, 0xb5c8, v25
	v_add_f16_e64 v157, v161, v157
	v_fma_f16 v147, v23, 0xb8d2, -v147
	v_add_f16_e64 v145, v146, v145
	v_fma_f16 v116, v33, 0x3b76, -v116
	v_fmac_f16_e64 v151, 0xb836, v27
	v_add_f16_e64 v113, v113, v157
	v_add_f16_e64 v147, v147, v4
	;; [unrolled: 1-line block ×3, first 2 shown]
	v_fma_f16 v148, v60, 0xb461, -v148
	v_fmac_f16_e64 v153, 0x3bf7, v31
	v_add_f16_e32 v113, v116, v113
	v_fma_f16 v116, v36, 0xbbdd, -v124
	v_add_f16_e64 v124, v151, v145
	v_add_f16_e64 v145, v148, v147
	v_fma_f16 v147, v26, 0x3b76, -v150
	v_fmac_f16_e64 v155, 0xb964, v35
	v_add_f16_e32 v113, v116, v113
	v_fma_f16 v116, v52, 0x39e9, -v138
	v_add_f16_e64 v124, v153, v124
	v_add_f16_e64 v138, v147, v145
	v_fma_f16 v145, v28, 0xbacd, -v154
	v_fmac_f16_e64 v160, 0xb1e1, v40
	v_add_f16_e32 v113, v116, v113
	v_fma_f16 v116, v54, 0xb461, -v141
	v_add_f16_e64 v124, v155, v124
	v_mul_f16_e64 v141, 0xb461, v117
	v_add_f16_e64 v138, v145, v138
	v_fma_f16 v145, v33, 0x2de8, -v156
	v_add_f16_e32 v113, v116, v113
	v_add_f16_e64 v116, v160, v124
	v_mul_f16_e32 v124, 0xbacd, v22
	v_add_f16_e64 v133, v133, v141
	v_add_f16_e64 v138, v145, v138
	v_fma_f16 v141, v36, 0x39e9, -v158
	v_alignbit_b32 v44, v44, v44, 16
	v_add_f16_e64 v124, v134, v124
	v_add_f16_e64 v133, v133, v82
	v_mul_f16_e64 v134, 0x39e9, v119
	v_add_f16_e64 v138, v141, v138
	v_fma_f16 v141, v52, 0xbbdd, -v162
	v_fmac_f16_e64 v159, 0x3964, v40
	v_add_f16_e64 v124, v124, v133
	v_add_f16_e64 v133, v136, v134
	v_mul_f16_e64 v134, 0xb461, v23
	v_add_f16_e64 v136, v141, v138
	v_mul_f16_e64 v138, 0x3722, v121
	v_mul_f16_e64 v141, 0xbacd, v60
	v_add_f16_e64 v124, v133, v124
	v_sub_f16_e64 v66, v134, v66
	v_fma_f16 v133, v54, 0x3722, -v167
	v_add_f16_e64 v134, v137, v138
	v_sub_f16_e64 v69, v141, v69
	v_mul_f16_e64 v137, 0xbbdd, v123
	v_add_f16_e32 v66, v66, v4
	v_add_f16_e64 v133, v133, v136
	v_mul_f16_e64 v136, 0x39e9, v26
	v_add_f16_e64 v124, v134, v124
	v_add_f16_e64 v134, v139, v137
	v_add_f16_e32 v66, v69, v66
	v_mul_f16_e32 v69, 0x2de8, v126
	v_sub_f16_e64 v72, v136, v72
	v_mul_f16_e64 v139, 0xb461, v119
	v_add_f16_e64 v124, v134, v124
	v_mul_f16_e64 v134, 0x3722, v28
	v_add_f16_e64 v69, v142, v69
	v_add_f16_e32 v66, v72, v66
	v_mul_f16_e32 v72, 0x3b76, v127
	v_add_f16_e64 v125, v125, v139
	v_sub_f16_e64 v74, v134, v74
	v_add_f16_e32 v69, v69, v124
	v_mul_f16_e32 v124, 0xbbdd, v33
	v_mul_f16_e64 v134, 0x39e9, v117
	v_add_f16_e64 v72, v144, v72
	v_add_f16_e32 v66, v74, v66
	v_mul_f16_e32 v74, 0x3722, v117
	v_sub_f16_e32 v79, v124, v79
	v_mul_f16_e32 v117, 0x2de8, v117
	v_add_f16_e32 v69, v72, v69
	v_mul_f16_e32 v72, 0x2de8, v36
	v_mul_f16_e64 v139, 0x3b76, v121
	v_add_f16_e32 v66, v79, v66
	v_mul_f16_e32 v79, 0xbbdd, v22
	v_add_f16_e32 v117, v120, v117
	v_sub_f16_e32 v72, v72, v96
	v_mul_f16_e32 v124, 0x2de8, v23
	v_add_f16_e64 v128, v128, v139
	v_add_f16_e32 v79, v122, v79
	v_add_f16_e32 v117, v117, v82
	;; [unrolled: 1-line block ×3, first 2 shown]
	v_mul_f16_e32 v72, 0x3b76, v52
	v_mul_f16_e32 v96, 0x39e9, v60
	v_sub_f16_e32 v57, v124, v57
	v_add_f16_e32 v79, v79, v117
	v_mul_f16_e32 v117, 0xb8d2, v60
	v_sub_f16_e32 v72, v72, v97
	v_mul_f16_e32 v60, 0xbbdd, v60
	v_add_f16_e32 v57, v57, v4
	v_add_f16_e32 v79, v125, v79
	v_mul_f16_e32 v125, 0xb8d2, v54
	v_add_f16_e32 v66, v72, v66
	v_mul_f16_e32 v72, 0x3722, v123
	v_sub_f16_e32 v59, v60, v59
	v_add_f16_e64 v79, v128, v79
	v_sub_f16_e32 v104, v125, v104
	v_alignbit_b32 v136, v4, v4, 16
	v_add_f16_e64 v72, v130, v72
	v_mul_f16_e64 v130, 0xb461, v26
	v_mul_f16_e32 v60, 0x3b76, v28
	v_add_f16_e32 v66, v104, v66
	v_mul_f16_e32 v104, 0xbacd, v126
	v_add_f16_e32 v72, v72, v79
	v_add_f16_e32 v57, v59, v57
	v_sub_f16_e64 v63, v130, v63
	v_mul_f16_e32 v97, 0xb8d2, v22
	v_add_f16_e64 v104, v131, v104
	v_mul_f16_e64 v131, 0xb8d2, v127
	v_sub_f16_e32 v60, v60, v65
	v_add_f16_e32 v57, v63, v57
	v_add_f16_e32 v74, v94, v74
	;; [unrolled: 1-line block ×3, first 2 shown]
	v_add_f16_e64 v131, v135, v131
	v_pk_add_f16 v5, v5, v136 op_sel:[0,1] op_sel_hi:[1,0]
	v_mul_f16_e32 v125, 0xb8d2, v119
	v_mul_f16_e32 v119, 0xbbdd, v119
	;; [unrolled: 1-line block ×3, first 2 shown]
	v_add_f16_e64 v72, v131, v72
	v_mul_f16_e64 v131, 0x3722, v33
	v_add_f16_e32 v57, v60, v57
	v_add_f16_e32 v74, v74, v82
	;; [unrolled: 1-line block ×3, first 2 shown]
	v_pk_add_f16 v5, v44, v5
	v_sub_f16_e64 v71, v131, v71
	v_mul_f16_e64 v138, 0x3722, v23
	v_add_f16_e32 v101, v101, v119
	v_add_f16_e32 v74, v95, v74
	v_sub_f16_e32 v76, v94, v76
	v_add_f16_e32 v57, v71, v57
	v_mul_f16_e32 v71, 0xb8d2, v52
	v_pk_add_f16 v5, v20, v5
	v_add_f16_e32 v74, v101, v74
	v_mul_f16_e32 v101, 0x39e9, v54
	v_sub_f16_e64 v38, v138, v38
	v_add_f16_e32 v57, v76, v57
	v_sub_f16_e32 v71, v71, v77
	v_pk_add_f16 v5, v15, v5
	v_mul_f16_e64 v128, 0xbbdd, v26
	v_add_f16_e32 v38, v38, v4
	v_sub_f16_e32 v39, v117, v39
	v_add_f16_e32 v57, v71, v57
	v_sub_f16_e32 v71, v101, v81
	v_pk_add_f16 v5, v16, v5
	v_mul_f16_e64 v137, 0x3b76, v23
	v_mul_f16_e32 v122, 0x2de8, v22
	v_mul_f16_e32 v124, 0xb461, v28
	v_add_f16_e32 v38, v39, v38
	v_sub_f16_e64 v39, v128, v55
	v_add_f16_e32 v55, v71, v57
	v_add_f16_e64 v57, v83, v134
	v_pk_add_f16 v5, v17, v5
	v_mul_f16_e64 v120, 0xb8d2, v132
	v_add_f16_e32 v38, v39, v38
	v_sub_f16_e32 v39, v124, v56
	v_add_f16_e32 v56, v57, v82
	v_add_f16_e32 v57, v84, v122
	v_sub_f16_e64 v15, v137, v32
	v_pk_add_f16 v5, v18, v5
	v_add_f16_e64 v120, v143, v120
	v_mul_f16_e64 v139, 0x3722, v26
	v_mul_f16_e32 v79, 0xbbdd, v121
	v_add_f16_e32 v56, v57, v56
	v_add_f16_e32 v44, v80, v125
	;; [unrolled: 1-line block ×3, first 2 shown]
	v_sub_f16_e32 v15, v96, v73
	v_pk_add_f16 v5, v13, v5
	v_add_f16_e32 v69, v120, v69
	v_mul_f16_e32 v120, 0x2de8, v28
	v_mul_f16_e64 v135, 0xbacd, v123
	v_add_f16_e32 v20, v44, v56
	v_add_f16_e32 v44, v86, v79
	;; [unrolled: 1-line block ×3, first 2 shown]
	v_sub_f16_e64 v15, v139, v75
	v_pk_add_f16 v5, v14, v5
	v_mul_f16_e32 v104, 0xb461, v33
	v_mul_f16_e64 v59, 0x39e9, v132
	v_mul_f16_e32 v63, 0xb461, v126
	v_add_f16_e32 v20, v44, v20
	v_add_f16_e64 v32, v88, v135
	v_add_f16_e32 v4, v15, v4
	v_sub_f16_e32 v15, v120, v78
	v_pk_add_f16 v5, v6, v5
	v_add_f16_e64 v59, v140, v59
	v_mul_f16_e64 v140, 0xb8d2, v36
	v_mul_f16_e64 v131, 0x3722, v127
	v_add_f16_e32 v16, v32, v20
	v_add_f16_e32 v20, v90, v63
	;; [unrolled: 1-line block ×3, first 2 shown]
	v_sub_f16_e32 v14, v104, v85
	v_pk_add_f16 v5, v7, v5
	v_mul_f16_e32 v60, 0xbacd, v52
	v_mul_f16_e64 v119, 0x3b76, v132
	v_add_f16_e32 v16, v20, v16
	v_add_f16_e64 v18, v93, v131
	v_add_f16_e32 v4, v14, v4
	v_sub_f16_e64 v6, v140, v87
	v_pk_add_f16 v2, v2, v5
	v_mul_f16_e64 v130, 0x39e9, v33
	v_mul_f16_e32 v95, 0xbbdd, v54
	v_add_f16_e32 v13, v18, v16
	v_add_f16_e32 v16, v111, v119
	v_bfi_b32 v15, 0xffff, v29, v99
	v_add_f16_e32 v4, v6, v4
	v_sub_f16_e32 v6, v60, v89
	v_pk_add_f16 v2, v3, v2
	v_mul_f16_e32 v65, 0x3b76, v36
	v_add_f16_e32 v38, v39, v38
	v_sub_f16_e64 v39, v130, v58
	v_add_f16_e32 v13, v16, v13
	v_bfi_b32 v16, 0xffff, v30, v100
	v_add_f16_e32 v4, v6, v4
	v_sub_f16_e32 v6, v95, v98
	v_and_b32_e32 v3, 0xffff, v45
	v_pk_add_f16 v15, v15, v136
	v_pk_mul_f16 v23, 0xbbdd, v23 op_sel_hi:[0,1]
	v_pk_add_f16 v0, v0, v2
	v_mul_f16_e32 v97, 0x2de8, v52
	v_add_f16_e32 v38, v39, v38
	v_sub_f16_e32 v39, v65, v61
	v_bfi_b32 v14, 0xffff, v34, v102
	v_add_f16_e32 v4, v6, v4
	v_lshlrev_b32_e32 v2, 2, v3
	v_pk_add_f16 v3, v16, v15
	v_pk_fma_f16 v6, 0xb1e1, v19, v23 op_sel:[0,0,1] op_sel_hi:[0,1,0] neg_lo:[0,1,0] neg_hi:[0,1,0]
	v_pk_mul_f16 v15, 0x35c8, v24 op_sel_hi:[0,1]
	v_pk_add_f16 v0, v1, v0
	v_pk_fma_f16 v1, 0xb1e1, v19, v23 op_sel:[0,0,1] op_sel_hi:[0,1,0]
	v_mul_f16_e32 v94, 0xbacd, v54
	v_add_f16_e32 v38, v39, v38
	v_sub_f16_e32 v39, v97, v68
	v_bfi_b32 v18, 0xffff, v37, v103
	v_pk_add_f16 v3, v14, v3
	v_pk_add_f16 v6, v6, v136
	v_pk_fma_f16 v14, 0x3b76, v22, v15 op_sel_hi:[0,1,1] neg_lo:[0,0,1] neg_hi:[0,0,1]
	v_pk_mul_f16 v16, 0xbacd, v26 op_sel_hi:[0,1]
	v_pk_add_f16 v1, v1, v136
	v_pk_fma_f16 v15, 0x3b76, v22, v15 op_sel_hi:[0,1,1]
	v_mul_f16_e32 v121, 0xb461, v121
	v_add_f16_e32 v17, v39, v38
	v_sub_f16_e32 v20, v94, v70
	v_bfi_b32 v7, 0xffff, v43, v105
	v_pk_add_f16 v3, v18, v3
	v_pk_add_f16 v6, v14, v6
	v_pk_fma_f16 v14, 0xb836, v25, v16 op_sel:[0,0,1] op_sel_hi:[0,1,0] neg_lo:[0,1,0] neg_hi:[0,1,0]
	v_pk_mul_f16 v18, 0x39e9, v28 op_sel_hi:[0,1]
	v_pk_add_f16 v1, v15, v1
	v_pk_fma_f16 v15, 0xb836, v25, v16 op_sel:[0,0,1] op_sel_hi:[0,1,0]
	v_mul_f16_e32 v123, 0x39e9, v123
	v_add_f16_e32 v109, v109, v121
	v_add_f16_e32 v17, v20, v17
	v_bfi_b32 v20, 0xffff, v62, v107
	v_pk_add_f16 v3, v7, v3
	v_pk_add_f16 v6, v14, v6
	v_pk_fma_f16 v7, 0x3964, v27, v18 op_sel:[0,0,1] op_sel_hi:[0,1,0] neg_lo:[0,1,0] neg_hi:[0,1,0]
	v_pk_mul_f16 v14, 0xb8d2, v33 op_sel_hi:[0,1]
	v_pk_add_f16 v1, v15, v1
	v_pk_fma_f16 v15, 0x3964, v27, v18 op_sel:[0,0,1] op_sel_hi:[0,1,0]
	v_mul_f16_e32 v126, 0x3b76, v126
	v_add_f16_e32 v59, v59, v72
	v_add_f16_e32 v72, v109, v74
	v_add_f16_e32 v74, v112, v123
	v_bfi_b32 v5, 0xffff, v64, v108
	v_pk_add_f16 v3, v20, v3
	v_pk_add_f16 v6, v7, v6
	v_pk_fma_f16 v7, 0xba62, v31, v14 op_sel:[0,0,1] op_sel_hi:[0,1,0] neg_lo:[0,1,0] neg_hi:[0,1,0]
	v_pk_mul_f16 v16, 0x3722, v36 op_sel_hi:[0,1]
	v_pk_add_f16 v1, v15, v1
	v_pk_fma_f16 v14, 0xba62, v31, v14 op_sel:[0,0,1] op_sel_hi:[0,1,0]
	v_mul_f16_e32 v127, 0x2de8, v127
	v_add_f16_e32 v72, v74, v72
	v_add_f16_e32 v74, v114, v126
	v_pk_add_f16 v3, v5, v3
	v_pk_add_f16 v5, v7, v6
	v_pk_fma_f16 v6, 0x3b29, v35, v16 op_sel:[0,0,1] op_sel_hi:[0,1,0] neg_lo:[0,1,0] neg_hi:[0,1,0]
	v_pk_mul_f16 v7, 0xb461, v52 op_sel_hi:[0,1]
	v_pk_add_f16 v1, v14, v1
	v_pk_fma_f16 v14, 0x3b29, v35, v16 op_sel:[0,0,1] op_sel_hi:[0,1,0]
	v_mul_f16_e64 v132, 0xbacd, v132
	v_add_f16_e32 v71, v74, v72
	v_add_f16_e32 v72, v115, v127
	v_add_f16_e64 v152, v159, v152
	v_fmac_f16_e64 v163, 0xbbb2, v53
	v_pk_add_f16 v5, v6, v5
	v_pk_fma_f16 v6, 0xbbb2, v40, v7 op_sel:[0,0,1] op_sel_hi:[0,1,0] neg_lo:[0,1,0] neg_hi:[0,1,0]
	v_pk_mul_f16 v15, 0x2de8, v54 op_sel_hi:[0,1]
	v_pk_add_f16 v1, v14, v1
	v_pk_fma_f16 v7, 0xbbb2, v40, v7 op_sel:[0,0,1] op_sel_hi:[0,1,0]
	v_bfi_b32 v29, 0xffff, v67, v110
	v_add_f16_e32 v71, v72, v71
	v_add_f16_e64 v57, v118, v132
	v_fmac_f16_e64 v164, 0x3b29, v53
	v_add_f16_e64 v146, v163, v152
	v_pk_add_f16 v5, v6, v5
	v_pk_fma_f16 v6, 0x3bf7, v53, v15 op_sel:[0,0,1] op_sel_hi:[0,1,0] neg_lo:[0,1,0] neg_hi:[0,1,0]
	v_pk_add_f16 v1, v7, v1
	v_pk_fma_f16 v7, 0x3bf7, v53, v15 op_sel:[0,0,1] op_sel_hi:[0,1,0]
	v_pk_add_f16 v3, v29, v3
	v_add_f16_e32 v56, v57, v71
	v_add_f16_e64 v116, v164, v116
	v_pk_add_f16 v0, v21, v0
	v_pack_b32_f16 v14, v113, v146
	v_pk_add_f16 v5, v6, v5
	v_pk_add_f16 v1, v7, v1
	v_alignbit_b32 v13, v13, v3, 16
	v_pack_b32_f16 v3, v4, v3
	v_pack_b32_f16 v4, v55, v59
	;; [unrolled: 1-line block ×5, first 2 shown]
	ds_store_2addr_b32 v2, v0, v14 offset1:7
	v_alignbit_b32 v0, v5, v1, 16
	v_alignbit_b32 v1, v1, v5, 16
	v_pack_b32_f16 v5, v92, v129
	v_pack_b32_f16 v14, v106, v91
	v_perm_b32 v16, v50, v12, 0x5040100
	v_perm_b32 v17, v51, v11, 0x5040100
	;; [unrolled: 1-line block ×5, first 2 shown]
	ds_store_2addr_b32 v2, v3, v13 offset0:1 offset1:2
	ds_store_2addr_b32 v2, v6, v4 offset0:3 offset1:4
	;; [unrolled: 1-line block ×7, first 2 shown]
	ds_store_b32 v2, v20 offset:64
.LBB0_7:
	s_wait_alu 0xfffe
	s_or_b32 exec_lo, exec_lo, s4
	v_and_b32_e32 v4, 0xff, v42
	v_add_co_u32 v29, null, 0x99, v42
	v_add_nc_u32_e32 v0, 0x132, v42
	v_add_nc_u32_e32 v1, 0x1cb, v42
	s_delay_alu instid0(VALU_DEP_4) | instskip(NEXT) | instid1(VALU_DEP_4)
	v_mul_lo_u16 v2, 0xf1, v4
	v_and_b32_e32 v6, 0xffff, v29
	s_load_b128 s[4:7], s[2:3], 0x0
	global_wb scope:SCOPE_SE
	s_wait_dscnt 0x0
	v_and_b32_e32 v3, 0xffff, v1
	v_lshrrev_b16 v30, 12, v2
	v_and_b32_e32 v2, 0xffff, v0
	v_mul_u32_u24_e32 v5, 0xf0f1, v6
	s_wait_kmcnt 0x0
	s_barrier_signal -1
	v_mul_u32_u24_e32 v14, 0xf0f1, v3
	v_mul_lo_u16 v7, v30, 17
	v_mul_u32_u24_e32 v13, 0xf0f1, v2
	v_lshrrev_b32_e32 v31, 20, v5
	s_barrier_wait -1
	v_lshrrev_b32_e32 v33, 20, v14
	v_sub_nc_u16 v5, v42, v7
	v_lshrrev_b32_e32 v32, 20, v13
	v_mul_lo_u16 v7, v31, 17
	global_inv scope:SCOPE_SE
	v_mul_lo_u16 v13, v33, 17
	v_and_b32_e32 v34, 0xff, v5
	v_mul_lo_u16 v5, v32, 17
	v_sub_nc_u16 v35, v29, v7
	v_mul_u32_u24_e32 v39, 0xa0a1, v6
	v_sub_nc_u16 v37, v1, v13
	v_lshlrev_b32_e32 v7, 3, v34
	v_sub_nc_u16 v36, v0, v5
	v_lshlrev_b16 v5, 1, v35
	v_mul_u32_u24_e32 v40, 0xa0a1, v2
	v_lshlrev_b16 v13, 1, v37
	global_load_b64 v[19:20], v7, s[0:1]
	v_lshlrev_b16 v7, 1, v36
	v_and_b32_e32 v5, 0xffff, v5
	v_mul_u32_u24_e32 v43, 0xa0a1, v3
	v_and_b32_e32 v13, 0xffff, v13
	v_lshrrev_b32_e32 v39, 21, v39
	v_and_b32_e32 v7, 0xffff, v7
	v_lshlrev_b32_e32 v5, 2, v5
	v_lshrrev_b32_e32 v40, 21, v40
	v_lshlrev_b32_e32 v13, 2, v13
	v_lshrrev_b32_e32 v56, 21, v43
	v_lshlrev_b32_e32 v7, 2, v7
	v_and_b32_e32 v30, 0xffff, v30
	v_mul_lo_u16 v53, v40, 51
	s_clause 0x2
	global_load_b64 v[17:18], v5, s[0:1]
	global_load_b64 v[15:16], v7, s[0:1]
	;; [unrolled: 1-line block ×3, first 2 shown]
	v_and_b32_e32 v5, 0xffff, v42
	v_mul_lo_u16 v7, 0xa1, v4
	v_mul_u32_u24_e32 v30, 51, v30
	v_sub_nc_u16 v59, v0, v53
	v_mul_lo_u16 v54, v56, 51
	v_lshlrev_b32_e32 v44, 2, v5
	v_lshrrev_b16 v38, 13, v7
	v_mul_u32_u24_e32 v2, 0x358b, v2
	v_mul_u32_u24_e32 v3, 0x358b, v3
	v_sub_nc_u16 v61, v1, v54
	v_add_nc_u32_e32 v114, 0x800, v44
	v_add_nc_u32_e32 v115, 0x1200, v44
	v_mul_lo_u16 v52, v38, 51
	v_add_nc_u32_e32 v117, 0x400, v44
	v_add_nc_u32_e32 v118, 0xe00, v44
	;; [unrolled: 1-line block ×3, first 2 shown]
	ds_load_2addr_b32 v[4:5], v44 offset1:153
	ds_load_2addr_b32 v[6:7], v114 offset0:100 offset1:253
	ds_load_2addr_b32 v[21:22], v115 offset0:72 offset1:225
	;; [unrolled: 1-line block ×5, first 2 shown]
	v_sub_nc_u16 v43, v42, v52
	v_mul_lo_u16 v52, v39, 51
	global_wb scope:SCOPE_SE
	s_wait_loadcnt_dscnt 0x0
	s_barrier_signal -1
	s_barrier_wait -1
	v_and_b32_e32 v57, 0xff, v43
	v_sub_nc_u16 v58, v29, v52
	v_add_lshl_u32 v52, v30, v34, 2
	v_mad_u16 v29, v31, 51, v35
	v_mad_u16 v30, v32, 51, v36
	;; [unrolled: 1-line block ×3, first 2 shown]
	v_lshlrev_b16 v32, 3, v58
	v_lshlrev_b16 v34, 3, v59
	v_and_b32_e32 v29, 0xffff, v29
	v_and_b32_e32 v30, 0xffff, v30
	v_lshrrev_b32_e32 v36, 16, v6
	v_and_b32_e32 v32, 0xffff, v32
	v_lshrrev_b32_e32 v37, 16, v21
	v_and_b32_e32 v31, 0xffff, v31
	v_and_b32_e32 v34, 0xffff, v34
	v_lshlrev_b32_e32 v55, 2, v29
	v_add_co_u32 v29, s2, s0, v32
	v_lshrrev_b32_e32 v62, 16, v7
	v_lshrrev_b32_e32 v63, 16, v22
	v_lshlrev_b32_e32 v54, 2, v30
	v_lshlrev_b32_e32 v53, 2, v31
	s_wait_alu 0xf1ff
	v_add_co_ci_u32_e64 v30, null, s1, 0, s2
	v_add_co_u32 v31, s2, s0, v34
	v_lshrrev_b32_e32 v73, 16, v25
	v_lshrrev_b32_e32 v74, 16, v27
	;; [unrolled: 1-line block ×8, first 2 shown]
	v_lshlrev_b16 v35, 3, v61
	global_inv scope:SCOPE_SE
	v_lshlrev_b32_e32 v33, 3, v57
	s_wait_alu 0xf1ff
	v_add_co_ci_u32_e64 v32, null, s1, 0, s2
	v_and_b32_e32 v35, 0xffff, v35
	v_lshrrev_b32_e32 v2, 21, v2
	v_lshrrev_b32_e32 v3, 21, v3
	s_delay_alu instid0(VALU_DEP_2) | instskip(NEXT) | instid1(VALU_DEP_2)
	v_mul_lo_u16 v2, 0x99, v2
	v_mul_lo_u16 v3, 0x99, v3
	s_delay_alu instid0(VALU_DEP_2) | instskip(NEXT) | instid1(VALU_DEP_2)
	v_sub_nc_u16 v0, v0, v2
	v_sub_nc_u16 v1, v1, v3
	v_lshrrev_b32_e32 v70, 16, v20
	v_lshrrev_b32_e32 v69, 16, v19
	s_delay_alu instid0(VALU_DEP_2) | instskip(NEXT) | instid1(VALU_DEP_2)
	v_mul_f16_e32 v64, v37, v70
	v_mul_f16_e32 v34, v36, v69
	;; [unrolled: 1-line block ×4, first 2 shown]
	s_delay_alu instid0(VALU_DEP_4) | instskip(NEXT) | instid1(VALU_DEP_4)
	v_fma_f16 v21, v21, v20, -v64
	v_fma_f16 v6, v6, v19, -v34
	s_delay_alu instid0(VALU_DEP_4)
	v_fmac_f16_e32 v78, v36, v19
	v_lshrrev_b32_e32 v71, 16, v17
	v_lshrrev_b32_e32 v68, 16, v18
	;; [unrolled: 1-line block ×6, first 2 shown]
	v_fmac_f16_e32 v79, v37, v20
	v_mul_f16_e32 v34, v62, v71
	v_mul_f16_e32 v36, v7, v71
	;; [unrolled: 1-line block ×12, first 2 shown]
	v_add_f16_e32 v90, v6, v21
	v_sub_f16_e32 v91, v78, v79
	v_add_f16_e32 v92, v43, v78
	v_add_f16_e32 v78, v78, v79
	v_fma_f16 v7, v7, v17, -v34
	v_fmac_f16_e32 v36, v62, v17
	v_fma_f16 v22, v22, v18, -v37
	v_fmac_f16_e32 v80, v63, v18
	;; [unrolled: 2-line block ×6, first 2 shown]
	v_add_f16_e32 v89, v4, v6
	v_sub_f16_e32 v6, v6, v21
	v_fma_f16 v4, -0.5, v90, v4
	v_fmac_f16_e32 v43, -0.5, v78
	v_add_f16_e32 v63, v7, v22
	v_sub_f16_e32 v73, v36, v80
	v_add_f16_e32 v74, v60, v36
	v_add_f16_e32 v36, v36, v80
	;; [unrolled: 1-line block ×5, first 2 shown]
	v_sub_f16_e32 v85, v86, v88
	v_add_f16_e32 v87, v75, v86
	v_add_f16_e32 v86, v86, v88
	;; [unrolled: 1-line block ×4, first 2 shown]
	v_fmamk_f16 v37, v91, 0x3aee, v4
	v_fmac_f16_e32 v4, 0xbaee, v91
	v_fmamk_f16 v62, v6, 0xbaee, v43
	v_fmac_f16_e32 v43, 0x3aee, v6
	v_add_f16_e32 v6, v5, v7
	v_sub_f16_e32 v7, v7, v22
	v_fmac_f16_e32 v5, -0.5, v63
	v_fmac_f16_e32 v60, -0.5, v36
	v_add_f16_e32 v76, v23, v25
	v_sub_f16_e32 v78, v82, v84
	v_add_f16_e32 v79, v72, v82
	v_sub_f16_e32 v25, v25, v27
	v_fma_f16 v23, -0.5, v77, v23
	v_fmac_f16_e32 v72, -0.5, v81
	v_add_f16_e32 v82, v24, v26
	v_sub_f16_e32 v26, v26, v28
	v_fmac_f16_e32 v24, -0.5, v83
	v_fmac_f16_e32 v75, -0.5, v86
	v_pack_b32_f16 v21, v21, v34
	v_add_f16_e32 v6, v6, v22
	v_add_f16_e32 v22, v74, v80
	v_pack_b32_f16 v37, v37, v62
	v_pack_b32_f16 v4, v4, v43
	v_fmamk_f16 v43, v73, 0x3aee, v5
	v_fmamk_f16 v62, v7, 0xbaee, v60
	v_fmac_f16_e32 v5, 0xbaee, v73
	v_fmac_f16_e32 v60, 0x3aee, v7
	v_add_f16_e32 v27, v76, v27
	v_add_f16_e32 v34, v79, v84
	v_fmamk_f16 v7, v78, 0x3aee, v23
	v_fmamk_f16 v63, v25, 0xbaee, v72
	v_fmac_f16_e32 v23, 0xbaee, v78
	v_fmac_f16_e32 v72, 0x3aee, v25
	v_add_f16_e32 v28, v82, v28
	v_add_f16_e32 v36, v87, v88
	v_fmamk_f16 v25, v85, 0x3aee, v24
	v_fmamk_f16 v73, v26, 0xbaee, v75
	v_fmac_f16_e32 v24, 0xbaee, v85
	v_fmac_f16_e32 v75, 0x3aee, v26
	ds_store_2addr_b32 v52, v21, v37 offset1:17
	ds_store_b32 v52, v4 offset:136
	v_pack_b32_f16 v4, v6, v22
	v_pack_b32_f16 v22, v43, v62
	;; [unrolled: 1-line block ×9, first 2 shown]
	ds_store_2addr_b32 v55, v4, v22 offset1:17
	ds_store_b32 v55, v5 offset:136
	ds_store_2addr_b32 v54, v6, v7 offset1:17
	ds_store_b32 v54, v23 offset:136
	;; [unrolled: 2-line block ×3, first 2 shown]
	v_add_co_u32 v4, s2, s0, v35
	global_wb scope:SCOPE_SE
	s_wait_dscnt 0x0
	s_barrier_signal -1
	s_barrier_wait -1
	global_inv scope:SCOPE_SE
	global_load_b64 v[27:28], v33, s[0:1] offset:136
	s_wait_alu 0xf1ff
	v_add_co_ci_u32_e64 v5, null, s1, 0, s2
	s_clause 0x2
	global_load_b64 v[25:26], v[29:30], off offset:136
	global_load_b64 v[23:24], v[31:32], off offset:136
	;; [unrolled: 1-line block ×3, first 2 shown]
	v_add_nc_u32_e32 v4, 0x264, v42
	v_add_nc_u32_e32 v5, 0x2fd, v42
	v_and_b32_e32 v29, 0xffff, v38
	v_and_b32_e32 v33, 0xffff, v0
	;; [unrolled: 1-line block ×5, first 2 shown]
	v_mul_u32_u24_e32 v29, 0x99, v29
	v_lshlrev_b32_e32 v43, 2, v42
	s_delay_alu instid0(VALU_DEP_4) | instskip(NEXT) | instid1(VALU_DEP_4)
	v_mul_u32_u24_e32 v6, 0x358b, v6
	v_mul_u32_u24_e32 v7, 0x358b, v7
	s_delay_alu instid0(VALU_DEP_4) | instskip(SKIP_1) | instid1(VALU_DEP_4)
	v_add_lshl_u32 v60, v29, v57, 2
	v_mad_u16 v29, 0x99, v56, v61
	v_lshrrev_b32_e32 v6, 21, v6
	s_delay_alu instid0(VALU_DEP_4) | instskip(NEXT) | instid1(VALU_DEP_2)
	v_lshrrev_b32_e32 v7, 21, v7
	v_mul_lo_u16 v6, 0x99, v6
	s_delay_alu instid0(VALU_DEP_2) | instskip(NEXT) | instid1(VALU_DEP_2)
	v_mul_lo_u16 v7, 0x99, v7
	v_sub_nc_u16 v2, v4, v6
	s_delay_alu instid0(VALU_DEP_2)
	v_sub_nc_u16 v3, v5, v7
	v_mad_u16 v6, 0x99, v39, v58
	v_mad_u16 v7, 0x99, v40, v59
	v_and_b32_e32 v39, 0xffff, v29
	v_and_b32_e32 v35, 0xffff, v2
	;; [unrolled: 1-line block ×3, first 2 shown]
	ds_load_2addr_b32 v[0:1], v44 offset1:153
	ds_load_2addr_b32 v[2:3], v114 offset0:100 offset1:253
	ds_load_2addr_b32 v[4:5], v115 offset0:72 offset1:225
	v_and_b32_e32 v37, 0xffff, v6
	v_and_b32_e32 v38, 0xffff, v7
	ds_load_2addr_b32 v[6:7], v117 offset0:50 offset1:203
	ds_load_2addr_b32 v[29:30], v118 offset0:22 offset1:175
	;; [unrolled: 1-line block ×3, first 2 shown]
	v_lshlrev_b32_e32 v58, 2, v34
	v_lshlrev_b32_e32 v57, 2, v35
	;; [unrolled: 1-line block ×7, first 2 shown]
	global_wb scope:SCOPE_SE
	s_wait_loadcnt_dscnt 0x0
	s_barrier_signal -1
	s_barrier_wait -1
	global_inv scope:SCOPE_SE
	v_lshrrev_b32_e32 v33, 16, v0
	v_lshrrev_b32_e32 v34, 16, v2
	;; [unrolled: 1-line block ×20, first 2 shown]
	v_mul_f16_e32 v76, v34, v98
	v_mul_f16_e32 v77, v2, v98
	;; [unrolled: 1-line block ×16, first 2 shown]
	v_fma_f16 v2, v2, v27, -v76
	v_fmac_f16_e32 v77, v34, v27
	v_fma_f16 v4, v4, v28, -v78
	v_fmac_f16_e32 v80, v35, v28
	;; [unrolled: 2-line block ×8, first 2 shown]
	v_add_f16_e32 v35, v2, v4
	v_add_f16_e32 v40, v77, v80
	v_sub_f16_e32 v37, v77, v80
	v_add_f16_e32 v38, v33, v77
	v_add_f16_e32 v74, v3, v5
	;; [unrolled: 1-line block ×6, first 2 shown]
	v_sub_f16_e32 v2, v2, v4
	v_add_f16_e32 v72, v1, v3
	v_sub_f16_e32 v75, v84, v87
	v_add_f16_e32 v76, v36, v84
	v_add_f16_e32 v78, v6, v29
	v_sub_f16_e32 v84, v90, v93
	v_add_f16_e32 v85, v39, v90
	v_add_f16_e32 v90, v7, v30
	;; [unrolled: 1-line block ×3, first 2 shown]
	v_sub_f16_e32 v94, v96, v99
	v_add_f16_e32 v97, v73, v96
	v_add_f16_e32 v96, v96, v99
	v_fma_f16 v0, -0.5, v35, v0
	v_fmac_f16_e32 v33, -0.5, v40
	v_sub_f16_e32 v3, v3, v5
	v_fmac_f16_e32 v1, -0.5, v74
	v_fmac_f16_e32 v36, -0.5, v77
	v_sub_f16_e32 v29, v29, v31
	v_fma_f16 v6, -0.5, v82, v6
	v_fmac_f16_e32 v39, -0.5, v88
	v_sub_f16_e32 v30, v30, v32
	v_add_f16_e32 v4, v34, v4
	v_add_f16_e32 v34, v38, v80
	;; [unrolled: 1-line block ×6, first 2 shown]
	v_fmac_f16_e32 v7, -0.5, v91
	v_add_f16_e32 v40, v97, v99
	v_fmac_f16_e32 v73, -0.5, v96
	v_fmamk_f16 v72, v37, 0x3aee, v0
	v_fmac_f16_e32 v0, 0xbaee, v37
	v_fmamk_f16 v37, v2, 0xbaee, v33
	v_fmac_f16_e32 v33, 0x3aee, v2
	v_add_f16_e32 v35, v76, v87
	v_fmamk_f16 v2, v75, 0x3aee, v1
	v_fmamk_f16 v74, v3, 0xbaee, v36
	v_fmac_f16_e32 v1, 0xbaee, v75
	v_fmac_f16_e32 v36, 0x3aee, v3
	v_fmamk_f16 v3, v84, 0x3aee, v6
	v_fmamk_f16 v75, v29, 0xbaee, v39
	v_fmac_f16_e32 v6, 0xbaee, v84
	v_fmac_f16_e32 v39, 0x3aee, v29
	v_fmamk_f16 v29, v94, 0x3aee, v7
	v_fmac_f16_e32 v7, 0xbaee, v94
	v_fmamk_f16 v76, v30, 0xbaee, v73
	v_fmac_f16_e32 v73, 0x3aee, v30
	v_pack_b32_f16 v4, v4, v34
	v_pack_b32_f16 v30, v31, v38
	;; [unrolled: 1-line block ×12, first 2 shown]
	ds_store_2addr_b32 v60, v4, v32 offset1:51
	ds_store_b32 v60, v0 offset:408
	ds_store_2addr_b32 v63, v5, v2 offset1:51
	ds_store_b32 v63, v1 offset:408
	;; [unrolled: 2-line block ×4, first 2 shown]
	global_wb scope:SCOPE_SE
	s_wait_dscnt 0x0
	s_barrier_signal -1
	s_barrier_wait -1
	global_inv scope:SCOPE_SE
	s_clause 0x4
	global_load_b32 v76, v43, s[0:1] offset:544
	global_load_b32 v75, v59, s[0:1] offset:544
	;; [unrolled: 1-line block ×5, first 2 shown]
	ds_load_2addr_b32 v[0:1], v44 offset1:153
	ds_load_2addr_b32 v[2:3], v118 offset0:22 offset1:175
	ds_load_2addr_b32 v[4:5], v117 offset0:50 offset1:203
	;; [unrolled: 1-line block ×5, first 2 shown]
	v_mad_co_u64_u32 v[33:34], null, v42, 20, s[0:1]
	v_add_nc_u32_e32 v35, 0x800, v59
	v_add_nc_u32_e32 v36, 0xe00, v58
	;; [unrolled: 1-line block ×4, first 2 shown]
	global_wb scope:SCOPE_SE
	s_wait_loadcnt_dscnt 0x0
	s_barrier_signal -1
	s_barrier_wait -1
	global_inv scope:SCOPE_SE
	v_lshrrev_b32_e32 v39, 16, v0
	v_lshrrev_b32_e32 v40, 16, v2
	v_lshrrev_b32_e32 v78, 16, v3
	v_lshrrev_b32_e32 v82, 16, v6
	v_lshrrev_b32_e32 v88, 16, v7
	v_lshrrev_b32_e32 v94, 16, v31
	v_lshrrev_b32_e32 v99, 16, v32
	v_lshrrev_b32_e32 v77, 16, v1
	v_lshrrev_b32_e32 v80, 16, v4
	v_lshrrev_b32_e32 v85, 16, v5
	v_lshrrev_b32_e32 v91, 16, v29
	v_lshrrev_b32_e32 v97, 16, v30
	v_lshrrev_b32_e32 v96, 16, v76
	v_lshrrev_b32_e32 v93, 16, v75
	v_lshrrev_b32_e32 v90, 16, v74
	v_lshrrev_b32_e32 v87, 16, v73
	v_lshrrev_b32_e32 v84, 16, v72
	v_mul_f16_e32 v100, v40, v96
	v_mul_f16_e32 v101, v2, v96
	;; [unrolled: 1-line block ×12, first 2 shown]
	v_fma_f16 v2, v2, v76, -v100
	v_fmac_f16_e32 v101, v40, v76
	v_fma_f16 v3, v3, v76, -v102
	v_fmac_f16_e32 v103, v78, v76
	v_fma_f16 v6, v6, v75, -v104
	v_fmac_f16_e32 v105, v82, v75
	v_fma_f16 v7, v7, v74, -v106
	v_fmac_f16_e32 v107, v88, v74
	v_fma_f16 v31, v31, v73, -v108
	v_fmac_f16_e32 v109, v94, v73
	v_fma_f16 v32, v32, v72, -v110
	v_fmac_f16_e32 v111, v99, v72
	v_sub_f16_e32 v2, v0, v2
	v_sub_f16_e32 v40, v39, v101
	;; [unrolled: 1-line block ×12, first 2 shown]
	v_fma_f16 v0, v0, 2.0, -v2
	v_fma_f16 v39, v39, 2.0, -v40
	v_fma_f16 v1, v1, 2.0, -v3
	v_fma_f16 v77, v77, 2.0, -v78
	v_fma_f16 v4, v4, 2.0, -v6
	v_fma_f16 v80, v80, 2.0, -v82
	v_fma_f16 v5, v5, 2.0, -v7
	v_fma_f16 v85, v85, 2.0, -v88
	v_fma_f16 v29, v29, 2.0, -v31
	v_fma_f16 v91, v91, 2.0, -v94
	v_fma_f16 v30, v30, 2.0, -v32
	v_fma_f16 v97, v97, 2.0, -v99
	v_pack_b32_f16 v2, v2, v40
	v_pack_b32_f16 v0, v0, v39
	;; [unrolled: 1-line block ×12, first 2 shown]
	ds_store_2addr_b32 v44, v0, v2 offset1:153
	ds_store_2addr_b32 v117, v1, v3 offset0:50 offset1:203
	ds_store_2addr_b32 v35, v4, v6 offset0:100 offset1:253
	;; [unrolled: 1-line block ×5, first 2 shown]
	global_wb scope:SCOPE_SE
	s_wait_dscnt 0x0
	s_barrier_signal -1
	s_barrier_wait -1
	global_inv scope:SCOPE_SE
	s_clause 0x3
	global_load_b128 v[4:7], v[33:34], off offset:1156
	global_load_b32 v78, v[33:34], off offset:1172
	global_load_b128 v[0:3], v[33:34], off offset:4216
	global_load_b32 v77, v[33:34], off offset:4232
	ds_load_2addr_b32 v[37:38], v44 offset1:153
	ds_load_2addr_b32 v[29:30], v117 offset0:50 offset1:203
	ds_load_2addr_b32 v[31:32], v114 offset0:100 offset1:253
	;; [unrolled: 1-line block ×5, first 2 shown]
	s_wait_dscnt 0x5
	v_lshrrev_b32_e32 v106, 16, v37
	s_wait_dscnt 0x4
	v_lshrrev_b32_e32 v102, 16, v29
	;; [unrolled: 2-line block ×6, first 2 shown]
	v_lshrrev_b32_e32 v110, 16, v34
	v_lshrrev_b32_e32 v112, 16, v40
	;; [unrolled: 1-line block ×6, first 2 shown]
	s_wait_loadcnt 0x3
	v_lshrrev_b32_e32 v101, 16, v4
	v_lshrrev_b32_e32 v100, 16, v5
	;; [unrolled: 1-line block ×4, first 2 shown]
	s_wait_loadcnt 0x2
	v_lshrrev_b32_e32 v94, 16, v78
	s_wait_loadcnt 0x1
	v_lshrrev_b32_e32 v88, 16, v1
	v_lshrrev_b32_e32 v85, 16, v2
	;; [unrolled: 1-line block ×3, first 2 shown]
	s_wait_loadcnt 0x0
	v_lshrrev_b32_e32 v80, 16, v77
	v_lshrrev_b32_e32 v91, 16, v0
	v_mul_f16_e32 v113, v102, v101
	v_mul_f16_e32 v120, v29, v101
	;; [unrolled: 1-line block ×9, first 2 shown]
	v_mul_f16_e64 v128, v39, v94
	v_mul_f16_e64 v132, v32, v88
	;; [unrolled: 1-line block ×11, first 2 shown]
	v_fma_f16 v113, v29, v4, -v113
	v_fmac_f16_e32 v120, v102, v4
	v_fma_f16 v29, v31, v5, -v121
	v_fmac_f16_e32 v122, v103, v5
	;; [unrolled: 2-line block ×4, first 2 shown]
	v_fma_f16 v35, v39, v78, -v127
	v_fmac_f16_e64 v128, v107, v78
	v_fmac_f16_e64 v132, v109, v1
	v_fma_f16 v34, v34, v2, -v133
	v_fmac_f16_e64 v134, v110, v2
	v_fmac_f16_e64 v136, v111, v3
	v_fma_f16 v39, v40, v77, -v137
	v_fmac_f16_e64 v138, v112, v77
	v_fma_f16 v30, v30, v0, -v129
	;; [unrolled: 2-line block ×3, first 2 shown]
	v_fma_f16 v36, v36, v3, -v135
	v_add_f16_e32 v40, v37, v29
	v_sub_f16_e32 v103, v122, v126
	v_add_f16_e32 v104, v106, v122
	v_add_f16_e32 v105, v122, v126
	;; [unrolled: 1-line block ×4, first 2 shown]
	v_sub_f16_e64 v109, v124, v128
	v_add_f16_e32 v110, v120, v124
	v_add_f16_e64 v111, v124, v128
	v_sub_f16_e64 v122, v132, v136
	v_add_f16_e64 v123, v119, v132
	v_add_f16_e64 v124, v132, v136
	v_add_f16_e32 v127, v34, v39
	v_add_f16_e64 v132, v134, v138
	v_add_f16_e32 v102, v29, v33
	v_sub_f16_e32 v29, v29, v33
	v_sub_f16_e32 v31, v31, v35
	v_add_f16_e32 v112, v38, v32
	v_add_f16_e32 v121, v32, v36
	v_sub_f16_e32 v125, v32, v36
	v_add_f16_e32 v32, v30, v34
	v_sub_f16_e64 v129, v134, v138
	v_add_f16_e64 v131, v130, v134
	v_sub_f16_e32 v34, v34, v39
	v_add_f16_e32 v33, v40, v33
	v_fmac_f16_e32 v106, -0.5, v105
	v_add_f16_e32 v35, v107, v35
	v_fmac_f16_e32 v113, -0.5, v108
	v_fmac_f16_e32 v120, -0.5, v111
	;; [unrolled: 1-line block ×3, first 2 shown]
	v_fmac_f16_e64 v130, -0.5, v132
	v_fma_f16 v37, -0.5, v102, v37
	v_add_f16_e32 v40, v104, v126
	v_add_f16_e64 v104, v110, v128
	v_add_f16_e32 v36, v112, v36
	v_fmac_f16_e32 v38, -0.5, v121
	v_add_f16_e64 v107, v123, v136
	v_fmac_f16_e32 v119, -0.5, v124
	v_add_f16_e32 v39, v32, v39
	v_add_f16_e64 v108, v131, v138
	v_fmamk_f16 v111, v29, 0xbaee, v106
	v_fmac_f16_e32 v106, 0x3aee, v29
	v_fmamk_f16 v112, v109, 0x3aee, v113
	v_fmac_f16_e32 v113, 0xbaee, v109
	;; [unrolled: 2-line block ×3, first 2 shown]
	v_add_f16_e32 v29, v33, v35
	v_sub_f16_e32 v32, v33, v35
	v_fma_f16 v31, 0x3aee, v129, v30
	v_fma_f16 v35, 0xbaee, v34, v130
	v_fmac_f16_e64 v30, 0xbaee, v129
	v_fmac_f16_e64 v130, 0x3aee, v34
	v_fmamk_f16 v110, v103, 0x3aee, v37
	v_fmac_f16_e32 v37, 0xbaee, v103
	v_add_f16_e32 v102, v40, v104
	v_sub_f16_e32 v103, v40, v104
	v_fmamk_f16 v121, v122, 0x3aee, v38
	v_fmac_f16_e32 v38, 0xbaee, v122
	v_fmamk_f16 v122, v125, 0xbaee, v119
	v_fmac_f16_e32 v119, 0x3aee, v125
	v_add_f16_e32 v33, v36, v39
	v_add_f16_e32 v105, v107, v108
	v_sub_f16_e32 v104, v107, v108
	v_mul_f16_e32 v34, 0x3aee, v109
	v_mul_f16_e32 v107, 0xbaee, v112
	;; [unrolled: 1-line block ×4, first 2 shown]
	v_mul_f16_e32 v40, -0.5, v113
	v_mul_f16_e32 v108, -0.5, v120
	;; [unrolled: 1-line block ×3, first 2 shown]
	v_mul_f16_e64 v126, -0.5, v130
	v_sub_f16_e32 v36, v36, v39
	v_pack_b32_f16 v39, v29, v102
	v_pack_b32_f16 v128, v33, v105
	v_fmac_f16_e32 v34, 0.5, v112
	v_fmac_f16_e32 v107, 0.5, v109
	;; [unrolled: 1-line block ×4, first 2 shown]
	v_fmac_f16_e32 v40, 0x3aee, v120
	v_fmac_f16_e32 v108, 0xbaee, v113
	v_fmac_f16_e64 v124, 0x3aee, v130
	v_fmac_f16_e32 v126, 0xbaee, v30
	ds_store_2addr_b32 v44, v39, v128 offset1:153
	v_add_f16_e32 v30, v110, v34
	v_add_f16_e32 v113, v111, v107
	v_sub_f16_e32 v39, v110, v34
	v_add_f16_e32 v34, v121, v123
	v_add_f16_e32 v109, v122, v125
	;; [unrolled: 1-line block ×4, first 2 shown]
	v_sub_f16_e32 v110, v106, v108
	v_add_f16_e32 v35, v38, v124
	v_add_f16_e32 v108, v119, v126
	v_sub_f16_e32 v40, v37, v40
	v_sub_f16_e32 v111, v111, v107
	;; [unrolled: 1-line block ×6, first 2 shown]
	v_pack_b32_f16 v127, v32, v103
	v_pack_b32_f16 v129, v36, v104
	;; [unrolled: 1-line block ×10, first 2 shown]
	ds_store_2addr_b32 v118, v127, v129 offset0:22 offset1:175
	ds_store_2addr_b32 v117, v119, v123 offset0:50 offset1:203
	;; [unrolled: 1-line block ×5, first 2 shown]
	global_wb scope:SCOPE_SE
	s_wait_dscnt 0x0
	s_barrier_signal -1
	s_barrier_wait -1
	global_inv scope:SCOPE_SE
	s_and_saveexec_b32 s2, vcc_lo
	s_cbranch_execz .LBB0_9
; %bb.8:
	global_load_b32 v114, v41, s[12:13] offset:7344
	s_add_nc_u64 s[0:1], s[12:13], 0x1cb0
	s_clause 0xf
	global_load_b32 v130, v41, s[0:1] offset:432
	global_load_b32 v131, v41, s[0:1] offset:864
	;; [unrolled: 1-line block ×16, first 2 shown]
	ds_load_b32 v115, v44
	v_add_nc_u32_e32 v146, 0x400, v43
	v_add_nc_u32_e32 v147, 0x800, v43
	;; [unrolled: 1-line block ×7, first 2 shown]
	s_wait_dscnt 0x0
	v_lshrrev_b32_e32 v116, 16, v115
	s_wait_loadcnt 0xf
	v_lshrrev_b32_e32 v153, 16, v130
	s_wait_loadcnt 0xe
	;; [unrolled: 2-line block ×12, first 2 shown]
	v_lshrrev_b32_e32 v164, 16, v141
	v_lshrrev_b32_e32 v117, 16, v114
	s_wait_loadcnt 0x3
	v_lshrrev_b32_e32 v165, 16, v142
	s_wait_loadcnt 0x2
	;; [unrolled: 2-line block ×4, first 2 shown]
	v_lshrrev_b32_e32 v168, 16, v145
	v_mul_f16_e32 v118, v116, v117
	v_mul_f16_e32 v117, v115, v117
	s_delay_alu instid0(VALU_DEP_2) | instskip(NEXT) | instid1(VALU_DEP_2)
	v_fma_f16 v115, v115, v114, -v118
	v_fmac_f16_e32 v117, v116, v114
	s_delay_alu instid0(VALU_DEP_1)
	v_pack_b32_f16 v114, v115, v117
	ds_store_b32 v44, v114
	ds_load_2addr_b32 v[114:115], v43 offset0:108 offset1:216
	ds_load_2addr_b32 v[116:117], v146 offset0:68 offset1:176
	;; [unrolled: 1-line block ×8, first 2 shown]
	s_wait_dscnt 0x7
	v_lshrrev_b32_e32 v169, 16, v114
	v_lshrrev_b32_e32 v171, 16, v115
	s_wait_dscnt 0x6
	v_lshrrev_b32_e32 v173, 16, v116
	v_lshrrev_b32_e32 v175, 16, v117
	;; [unrolled: 3-line block ×5, first 2 shown]
	v_mul_f16_e64 v170, v114, v153
	v_mul_f16_e64 v172, v115, v154
	s_wait_dscnt 0x2
	v_lshrrev_b32_e32 v189, 16, v124
	v_lshrrev_b32_e32 v191, 16, v125
	s_wait_dscnt 0x1
	v_lshrrev_b32_e32 v193, 16, v126
	v_lshrrev_b32_e32 v195, 16, v127
	;; [unrolled: 3-line block ×3, first 2 shown]
	v_mul_f16_e64 v153, v169, v153
	v_mul_f16_e64 v154, v171, v154
	;; [unrolled: 1-line block ×24, first 2 shown]
	v_fmac_f16_e64 v170, v169, v130
	v_fmac_f16_e64 v172, v171, v131
	v_mul_f16_e64 v163, v189, v163
	v_mul_f16_e64 v164, v191, v164
	;; [unrolled: 1-line block ×6, first 2 shown]
	v_fma_f16 v114, v114, v130, -v153
	v_fma_f16 v115, v115, v131, -v154
	v_fmac_f16_e64 v174, v173, v132
	v_fmac_f16_e64 v176, v175, v133
	v_fma_f16 v116, v116, v132, -v155
	v_fma_f16 v117, v117, v133, -v156
	v_fmac_f16_e64 v178, v177, v134
	v_fmac_f16_e64 v180, v179, v135
	;; [unrolled: 4-line block ×5, first 2 shown]
	v_fmac_f16_e64 v194, v193, v142
	v_fmac_f16_e64 v196, v195, v143
	;; [unrolled: 1-line block ×4, first 2 shown]
	v_fma_f16 v124, v124, v140, -v163
	v_fma_f16 v125, v125, v141, -v164
	;; [unrolled: 1-line block ×6, first 2 shown]
	v_pack_b32_f16 v114, v114, v170
	v_pack_b32_f16 v115, v115, v172
	;; [unrolled: 1-line block ×16, first 2 shown]
	ds_store_2addr_b32 v43, v114, v115 offset0:108 offset1:216
	ds_store_2addr_b32 v146, v116, v117 offset0:68 offset1:176
	;; [unrolled: 1-line block ×8, first 2 shown]
.LBB0_9:
	s_wait_alu 0xfffe
	s_or_b32 exec_lo, exec_lo, s2
	global_wb scope:SCOPE_SE
	s_wait_dscnt 0x0
	s_barrier_signal -1
	s_barrier_wait -1
	global_inv scope:SCOPE_SE
	s_and_saveexec_b32 s0, vcc_lo
	s_cbranch_execz .LBB0_11
; %bb.10:
	v_add_nc_u32_e32 v9, 0x200, v44
	v_add_nc_u32_e32 v10, 0x600, v44
	;; [unrolled: 1-line block ×3, first 2 shown]
	ds_load_2addr_b32 v[29:30], v44 offset1:108
	ds_load_2addr_b32 v[31:32], v9 offset0:88 offset1:196
	v_add_nc_u32_e32 v9, 0xc00, v44
	ds_load_2addr_b32 v[39:40], v10 offset0:48 offset1:156
	v_add_nc_u32_e32 v10, 0x1000, v44
	;; [unrolled: 2-line block ×4, first 2 shown]
	ds_load_2addr_b32 v[37:38], v10 offset0:56 offset1:164
	ds_load_2addr_b32 v[11:12], v11 offset0:16 offset1:124
	;; [unrolled: 1-line block ×3, first 2 shown]
	ds_load_b32 v46, v44 offset:6912
	s_wait_dscnt 0x8
	v_lshrrev_b32_e32 v102, 16, v29
	v_lshrrev_b32_e32 v113, 16, v30
	s_wait_dscnt 0x7
	v_lshrrev_b32_e32 v112, 16, v31
	v_lshrrev_b32_e32 v103, 16, v32
	s_wait_dscnt 0x6
	v_lshrrev_b32_e32 v111, 16, v39
	v_lshrrev_b32_e32 v110, 16, v40
	s_wait_dscnt 0x5
	v_lshrrev_b32_e32 v105, 16, v33
	v_lshrrev_b32_e32 v109, 16, v34
	s_wait_dscnt 0x4
	v_lshrrev_b32_e32 v108, 16, v35
	v_lshrrev_b32_e32 v104, 16, v36
	s_wait_dscnt 0x3
	v_lshrrev_b32_e32 v107, 16, v37
	v_lshrrev_b32_e32 v106, 16, v38
	s_wait_dscnt 0x2
	v_lshrrev_b32_e32 v51, 16, v11
	v_lshrrev_b32_e32 v50, 16, v12
	s_wait_dscnt 0x1
	v_lshrrev_b32_e32 v49, 16, v9
	v_lshrrev_b32_e32 v48, 16, v10
	s_wait_dscnt 0x0
	v_lshrrev_b32_e32 v47, 16, v46
.LBB0_11:
	s_wait_alu 0xfffe
	s_or_b32 exec_lo, exec_lo, s0
	global_wb scope:SCOPE_SE
	s_barrier_signal -1
	s_barrier_wait -1
	global_inv scope:SCOPE_SE
	s_and_saveexec_b32 s0, vcc_lo
	s_cbranch_execz .LBB0_13
; %bb.12:
	v_sub_f16_e32 v119, v30, v46
	v_add_f16_e64 v155, v47, v113
	v_sub_f16_e32 v118, v31, v10
	v_add_f16_e64 v154, v48, v112
	v_sub_f16_e32 v114, v32, v9
	v_mul_f16_e64 v141, 0xba62, v119
	v_add_f16_e64 v153, v49, v103
	v_mul_f16_e64 v147, 0x3bb2, v118
	v_sub_f16_e32 v115, v39, v12
	v_mul_f16_e64 v156, 0xb5c8, v114
	v_fma_f16 v117, 0xb8d2, v155, v141
	v_add_f16_e64 v151, v50, v111
	v_fma_f16 v120, 0xb461, v154, v147
	v_sub_f16_e32 v116, v40, v11
	v_mul_f16_e64 v157, 0xb836, v115
	v_add_f16_e32 v121, v102, v117
	v_fma_f16 v122, 0x3b76, v153, v156
	v_add_f16_e64 v152, v51, v110
	v_sub_f16_e32 v117, v33, v38
	v_sub_f16_e64 v139, v113, v47
	v_add_f16_e32 v120, v120, v121
	v_mul_f16_e64 v158, 0x3bf7, v116
	v_fma_f16 v123, 0xbacd, v151, v157
	v_add_f16_e64 v138, v106, v105
	v_add_f16_e32 v121, v46, v30
	v_add_f16_e32 v120, v122, v120
	v_sub_f16_e64 v140, v112, v48
	v_mul_f16_e64 v159, 0xb964, v117
	v_mul_f16_e64 v160, 0xba62, v139
	v_fma_f16 v124, 0x2de8, v152, v158
	v_add_f16_e32 v120, v123, v120
	v_add_f16_e32 v122, v10, v31
	v_mul_f16_e64 v161, 0x3bb2, v140
	v_fma_f16 v123, 0x39e9, v138, v159
	v_fma_f16 v125, v121, 0xb8d2, -v160
	v_add_f16_e32 v124, v124, v120
	v_sub_f16_e64 v142, v103, v49
	v_sub_f16_e32 v120, v34, v37
	v_fma_f16 v126, v122, 0xb461, -v161
	v_add_f16_e32 v125, v29, v125
	v_add_f16_e32 v127, v123, v124
	;; [unrolled: 1-line block ×3, first 2 shown]
	v_mul_f16_e64 v162, 0xb5c8, v142
	v_sub_f16_e64 v144, v111, v50
	v_mul_f16_e64 v163, 0xb1e1, v120
	v_add_f16_e64 v148, v107, v109
	v_add_f16_e32 v126, v126, v125
	v_fma_f16 v128, v124, 0x3b76, -v162
	v_add_f16_e32 v125, v12, v39
	v_mul_f16_e64 v164, 0xb836, v144
	v_sub_f16_e64 v145, v110, v51
	v_mul_f16_e64 v136, 0xb836, v119
	v_fma_f16 v129, 0xbbdd, v148, v163
	v_add_f16_e64 v128, v128, v126
	v_fma_f16 v130, v125, 0xbacd, -v164
	v_add_f16_e32 v126, v11, v40
	v_mul_f16_e64 v165, 0x3bf7, v145
	v_sub_f16_e64 v143, v105, v106
	v_fma_f16 v131, 0xbacd, v155, v136
	v_mul_f16_e64 v137, 0x3b29, v118
	v_sub_f16_e32 v123, v35, v36
	v_add_f16_e64 v127, v129, v127
	v_add_f16_e64 v129, v130, v128
	v_fma_f16 v130, v126, 0x2de8, -v165
	v_add_f16_e64 v128, v38, v33
	v_mul_f16_e64 v167, 0xb964, v143
	v_sub_f16_e64 v146, v109, v107
	v_add_f16_e64 v131, v102, v131
	v_fma_f16 v133, 0x3722, v154, v137
	v_mul_f16_e64 v169, 0xbbf7, v114
	v_mul_f16_e64 v166, 0x3b29, v123
	v_add_f16_e64 v149, v104, v108
	v_add_f16_e64 v130, v130, v129
	v_fma_f16 v132, v128, 0x39e9, -v167
	v_add_f16_e64 v129, v37, v34
	v_mul_f16_e64 v168, 0xb1e1, v146
	v_add_f16_e64 v131, v133, v131
	v_fma_f16 v133, 0x2de8, v153, v169
	v_mul_f16_e64 v170, 0x3a62, v115
	v_fma_f16 v134, 0x3722, v149, v166
	v_add_f16_e64 v130, v132, v130
	v_fma_f16 v132, v129, 0xbbdd, -v168
	v_add_f16_e64 v131, v133, v131
	v_fma_f16 v133, 0xb8d2, v151, v170
	v_mul_f16_e64 v171, 0xb5c8, v116
	v_sub_f16_e64 v150, v108, v104
	v_mul_f16_e64 v172, 0xb836, v139
	v_add_f16_e64 v127, v134, v127
	v_add_f16_e64 v132, v132, v130
	;; [unrolled: 1-line block ×4, first 2 shown]
	v_fma_f16 v133, 0x3b76, v152, v171
	v_mul_f16_e64 v173, 0xb1e1, v117
	v_mul_f16_e64 v174, 0x3b29, v150
	v_fma_f16 v134, v121, 0xbacd, -v172
	v_mul_f16_e64 v175, 0x3b29, v140
	v_add_f16_e64 v131, v133, v131
	v_fma_f16 v133, 0xbbdd, v138, v173
	v_mul_f16_e64 v176, 0x3964, v120
	v_add_f16_e64 v134, v29, v134
	v_fma_f16 v135, v122, 0x3722, -v175
	v_mul_f16_e64 v177, 0xbbf7, v142
	v_fma_f16 v178, v130, 0x3722, -v174
	v_add_f16_e64 v133, v133, v131
	v_fma_f16 v179, 0x39e9, v148, v176
	v_add_f16_e64 v134, v135, v134
	v_fma_f16 v135, v124, 0x2de8, -v177
	v_mul_f16_e64 v180, 0x3a62, v144
	v_add_f16_e64 v131, v178, v132
	v_mul_f16_e64 v178, 0xb1e1, v119
	v_add_f16_e64 v132, v179, v133
	v_add_f16_e64 v133, v135, v134
	v_fma_f16 v134, v125, 0xb8d2, -v180
	v_mul_f16_e64 v179, 0xb5c8, v145
	v_fma_f16 v135, 0xbbdd, v155, v178
	v_mul_f16_e64 v182, 0x35c8, v118
	v_mul_f16_e64 v181, 0xbbb2, v123
	v_add_f16_e64 v133, v134, v133
	v_fma_f16 v134, v126, 0x3b76, -v179
	v_mul_f16_e64 v183, 0xb1e1, v143
	v_add_f16_e64 v135, v102, v135
	v_fma_f16 v184, 0x3b76, v154, v182
	v_mul_f16_e64 v185, 0xb836, v114
	v_add_f16_e64 v133, v134, v133
	v_fma_f16 v134, v128, 0xbbdd, -v183
	v_mul_f16_e64 v186, 0x3964, v146
	v_add_f16_e64 v135, v184, v135
	v_fma_f16 v184, 0xbacd, v153, v185
	v_mul_f16_e64 v187, 0x3964, v115
	v_fma_f16 v188, 0xb461, v149, v181
	v_add_f16_e64 v133, v134, v133
	v_fma_f16 v134, v129, 0x39e9, -v186
	v_add_f16_e64 v135, v184, v135
	v_fma_f16 v184, 0x39e9, v151, v187
	v_mul_f16_e64 v189, 0xba62, v116
	v_add_f16_e64 v132, v188, v132
	v_mul_f16_e64 v188, 0xb1e1, v139
	v_add_f16_e64 v133, v134, v133
	v_add_f16_e64 v134, v184, v135
	v_fma_f16 v135, 0xb8d2, v152, v189
	v_mul_f16_e64 v184, 0x3b29, v117
	v_fma_f16 v191, v121, 0xbbdd, -v188
	v_mul_f16_e64 v192, 0x35c8, v140
	v_mul_f16_e64 v193, 0xbbb2, v120
	v_add_f16_e64 v134, v135, v134
	v_fma_f16 v135, 0x3722, v138, v184
	v_add_f16_e64 v191, v29, v191
	v_fma_f16 v194, v122, 0x3b76, -v192
	v_mul_f16_e64 v195, 0xb836, v142
	v_mul_f16_e64 v197, 0x3964, v144
	v_add_f16_e64 v134, v135, v134
	v_fma_f16 v135, 0xb461, v148, v193
	v_add_f16_e64 v191, v194, v191
	v_fma_f16 v194, v124, 0xbacd, -v195
	v_fma_f16 v182, v154, 0x3b76, -v182
	v_mul_f16_e64 v198, 0x3b29, v143
	v_add_f16_e64 v134, v135, v134
	v_fma_f16 v135, v155, 0xbbdd, -v178
	v_add_f16_e64 v178, v194, v191
	v_fma_f16 v191, v125, 0x39e9, -v197
	v_mul_f16_e64 v194, 0xba62, v145
	v_fmac_f16_e64 v188, 0xbbdd, v121
	v_add_f16_e64 v135, v102, v135
	v_fmac_f16_e64 v192, 0x3b76, v122
	v_add_f16_e64 v178, v191, v178
	v_fma_f16 v191, v126, 0xb8d2, -v194
	v_fmac_f16_e64 v195, 0xbacd, v124
	v_add_f16_e64 v135, v182, v135
	v_fma_f16 v182, v153, 0xbacd, -v185
	v_fma_f16 v185, v128, 0x3722, -v198
	v_add_f16_e64 v178, v191, v178
	v_fmac_f16_e64 v197, 0x39e9, v125
	v_fma_f16 v136, v155, 0xbacd, -v136
	v_add_f16_e64 v135, v182, v135
	v_fma_f16 v182, v151, 0x39e9, -v187
	v_add_f16_e64 v178, v185, v178
	v_mul_f16_e64 v185, 0xbbb2, v146
	v_add_f16_e64 v187, v29, v188
	v_fmac_f16_e64 v194, 0xb8d2, v126
	v_add_f16_e64 v135, v182, v135
	v_fma_f16 v182, v152, 0xb8d2, -v189
	v_fma_f16 v188, v129, 0xb461, -v185
	v_mul_f16_e64 v189, 0x3bf7, v150
	v_add_f16_e64 v187, v192, v187
	v_fma_f16 v137, v154, 0x3722, -v137
	v_add_f16_e64 v135, v182, v135
	v_fma_f16 v182, v138, 0x3722, -v184
	;; [unrolled: 2-line block ×3, first 2 shown]
	v_add_f16_e64 v187, v195, v187
	v_fmac_f16_e64 v198, 0x3722, v128
	v_add_f16_e64 v182, v182, v135
	v_fmac_f16_e64 v172, 0xbacd, v121
	v_add_f16_e64 v135, v184, v178
	v_add_f16_e64 v178, v197, v187
	;; [unrolled: 1-line block ×3, first 2 shown]
	v_fma_f16 v169, v153, 0x2de8, -v169
	v_fmac_f16_e64 v185, 0xb461, v129
	v_add_f16_e64 v172, v29, v172
	v_add_f16_e64 v178, v194, v178
	;; [unrolled: 1-line block ×3, first 2 shown]
	v_fmac_f16_e64 v175, 0x3722, v122
	v_fmac_f16_e64 v189, 0x2de8, v130
	;; [unrolled: 1-line block ×3, first 2 shown]
	v_add_f16_e64 v178, v198, v178
	v_add_f16_e64 v137, v169, v137
	v_fma_f16 v169, v151, 0xb8d2, -v170
	v_add_f16_e64 v172, v175, v172
	v_fma_f16 v141, v155, 0xb8d2, -v141
	;; [unrolled: 2-line block ×3, first 2 shown]
	v_add_f16_e64 v169, v169, v137
	v_fmac_f16_e64 v180, 0xb8d2, v125
	v_add_f16_e64 v141, v102, v141
	v_add_f16_e64 v137, v189, v170
	v_add_f16_e64 v170, v177, v172
	v_fma_f16 v147, v154, 0xb461, -v147
	v_add_f16_e64 v169, v171, v169
	v_fma_f16 v171, v138, 0xbbdd, -v173
	v_fmac_f16_e64 v179, 0x3b76, v126
	v_add_f16_e64 v170, v180, v170
	v_add_f16_e64 v141, v147, v141
	v_fma_f16 v147, v153, 0x3b76, -v156
	v_add_f16_e64 v169, v171, v169
	v_fma_f16 v171, v148, 0x39e9, -v176
	v_add_f16_e64 v156, v179, v170
	v_fmac_f16_e64 v183, 0xbbdd, v128
	v_add_f16_e64 v147, v147, v141
	v_fma_f16 v157, v151, 0xbacd, -v157
	v_mul_f16_e64 v190, 0xbbb2, v150
	v_add_f16_e64 v169, v171, v169
	v_fma_f16 v170, v149, 0xb461, -v181
	v_add_f16_e64 v156, v183, v156
	v_fmac_f16_e64 v186, 0x39e9, v129
	v_fmac_f16_e64 v160, 0xb8d2, v121
	v_add_f16_e64 v147, v157, v147
	v_fma_f16 v157, v152, 0x2de8, -v158
	v_fma_f16 v196, v130, 0xb461, -v190
	v_add_f16_e64 v141, v170, v169
	v_add_f16_e64 v156, v186, v156
	v_fmac_f16_e64 v190, 0xb461, v130
	v_add_f16_e64 v158, v29, v160
	v_fmac_f16_e64 v161, 0xb461, v122
	v_add_f16_e64 v157, v157, v147
	v_fma_f16 v159, v138, 0x39e9, -v159
	v_mul_f16_e64 v169, 0xb461, v155
	v_add_f16_e64 v147, v190, v156
	v_add_f16_e64 v156, v161, v158
	v_fmac_f16_e64 v162, 0x3b76, v124
	v_add_f16_e64 v157, v159, v157
	v_fma_f16 v158, v148, 0xbbdd, -v163
	v_fma_f16 v159, 0x3bb2, v119, v169
	v_mul_f16_e64 v163, 0xbacd, v154
	v_add_f16_e64 v156, v162, v156
	v_fmac_f16_e64 v164, 0xbacd, v125
	v_add_f16_e64 v157, v158, v157
	v_add_f16_e64 v158, v102, v159
	v_fma_f16 v159, 0xb836, v118, v163
	v_mul_f16_e64 v162, 0x39e9, v153
	v_add_f16_e64 v156, v164, v156
	v_fmac_f16_e64 v165, 0x2de8, v126
	v_fma_f16 v160, v149, 0x3722, -v166
	v_add_f16_e64 v158, v159, v158
	v_fma_f16 v159, 0xb964, v114, v162
	v_mul_f16_e64 v164, 0x3722, v151
	v_add_f16_e64 v161, v165, v156
	v_fmac_f16_e64 v167, 0x39e9, v128
	v_add_f16_e64 v156, v160, v157
	v_add_f16_e64 v157, v159, v158
	v_fma_f16 v158, 0x3b29, v115, v164
	v_mul_f16_e64 v165, 0xbbdd, v152
	v_add_f16_e64 v159, v167, v161
	v_fmac_f16_e64 v168, 0xbbdd, v129
	v_mul_f16_e64 v166, 0xbbb2, v139
	v_add_f16_e64 v157, v158, v157
	v_fma_f16 v158, 0x31e1, v116, v165
	v_mul_f16_e64 v167, 0x2de8, v138
	v_add_f16_e64 v159, v168, v159
	v_fma_f16 v160, 0xb461, v121, v166
	;; [unrolled: 3-line block ×5, first 2 shown]
	v_fmac_f16_e64 v174, 0x3722, v130
	v_add_f16_e64 v160, v161, v160
	v_fma_f16 v161, 0x39e9, v124, v171
	v_mul_f16_e64 v173, 0xbb29, v144
	v_add_f16_e64 v158, v172, v158
	v_mul_f16_e64 v172, 0x2de8, v155
	v_add_f16_e64 v133, v196, v133
	v_mul_f16_e64 v196, 0x3bf7, v123
	v_fma_f16 v188, v148, 0xb461, -v193
	v_add_f16_e64 v157, v174, v159
	v_add_f16_e64 v159, v161, v160
	v_fma_f16 v160, 0x3722, v125, v173
	v_mul_f16_e64 v174, 0xb1e1, v145
	v_fma_f16 v161, 0x3bf7, v119, v172
	v_mul_f16_e64 v176, 0xbbdd, v154
	v_add_f16_e64 v182, v188, v182
	v_fma_f16 v184, v149, 0x2de8, -v196
	v_mul_f16_e64 v175, 0xb8d2, v149
	v_add_f16_e64 v159, v160, v159
	v_fma_f16 v160, 0xbbdd, v126, v174
	v_mul_f16_e64 v177, 0x3bf7, v143
	v_add_f16_e64 v161, v102, v161
	v_fma_f16 v178, 0x31e1, v118, v176
	v_mul_f16_e64 v179, 0xb461, v153
	v_add_f16_e64 v136, v184, v182
	v_add_f16_e64 v159, v160, v159
	v_fma_f16 v160, 0x2de8, v128, v177
	v_mul_f16_e64 v180, 0xb5c8, v146
	v_add_f16_e64 v161, v178, v161
	v_fma_f16 v178, 0xbbb2, v114, v179
	v_mul_f16_e64 v181, 0x3b76, v151
	v_fma_f16 v182, 0x3a62, v123, v175
	v_add_f16_e64 v159, v160, v159
	v_fma_f16 v160, 0x3b76, v129, v180
	v_add_f16_e64 v161, v178, v161
	v_fma_f16 v178, 0xb5c8, v115, v181
	v_mul_f16_e64 v183, 0x3722, v152
	v_add_f16_e64 v158, v182, v158
	v_mul_f16_e64 v182, 0xbbf7, v139
	v_mul_f16_e64 v184, 0xba62, v150
	v_add_f16_e64 v159, v160, v159
	v_add_f16_e64 v160, v178, v161
	v_fma_f16 v161, 0x3b29, v116, v183
	v_mul_f16_e64 v178, 0xbacd, v138
	v_fma_f16 v185, 0x2de8, v121, v182
	v_mul_f16_e64 v186, 0xb1e1, v140
	v_fma_f16 v190, 0xb8d2, v130, v184
	v_add_f16_e64 v160, v161, v160
	v_fma_f16 v161, 0x3836, v117, v178
	v_mul_f16_e64 v187, 0xb8d2, v148
	v_add_f16_e64 v185, v29, v185
	v_fma_f16 v188, 0xbbdd, v122, v186
	v_mul_f16_e64 v189, 0x3bb2, v142
	v_add_f16_e64 v159, v190, v159
	v_mul_f16_e64 v190, 0x3722, v155
	v_add_f16_e64 v160, v161, v160
	v_fma_f16 v161, 0xba62, v120, v187
	v_add_f16_e64 v185, v188, v185
	v_fma_f16 v188, 0xb461, v124, v189
	v_mul_f16_e64 v191, 0x35c8, v144
	v_fma_f16 v193, 0x3b29, v119, v190
	v_mul_f16_e64 v194, 0xb8d2, v154
	v_fma_f16 v199, 0x2de8, v149, v196
	v_add_f16_e64 v160, v161, v160
	v_add_f16_e64 v161, v188, v185
	v_fma_f16 v185, 0x3b76, v125, v191
	v_mul_f16_e64 v188, 0xbb29, v145
	v_add_f16_e64 v193, v102, v193
	v_fma_f16 v196, 0x3a62, v118, v194
	v_mul_f16_e64 v197, 0xbbdd, v153
	v_add_f16_e64 v134, v199, v134
	v_mul_f16_e64 v192, 0x39e9, v149
	v_add_f16_e64 v161, v185, v161
	v_fma_f16 v185, 0x3722, v126, v188
	v_mul_f16_e64 v195, 0xb836, v143
	v_add_f16_e64 v193, v196, v193
	v_fma_f16 v196, 0xb1e1, v114, v197
	;; [unrolled: 3-line block ×3, first 2 shown]
	v_mul_f16_e64 v198, 0x3a62, v146
	v_fma_f16 v200, 0xb964, v123, v192
	v_add_f16_e64 v193, v196, v193
	v_fma_f16 v196, 0xbbb2, v115, v199
	v_mul_f16_e64 v201, 0x39e9, v152
	v_add_f16_e64 v161, v185, v161
	v_fma_f16 v185, 0xb8d2, v129, v198
	v_add_f16_e64 v160, v200, v160
	v_add_f16_e64 v193, v196, v193
	v_fma_f16 v196, 0xb964, v116, v201
	v_mul_f16_e64 v200, 0x3b76, v138
	v_add_f16_e64 v161, v185, v161
	v_mul_f16_e64 v185, 0xbb29, v139
	v_mul_f16_e64 v205, 0x2de8, v148
	v_add_f16_e64 v193, v196, v193
	v_fma_f16 v196, 0x35c8, v117, v200
	v_mul_f16_e64 v204, 0xba62, v140
	v_fma_f16 v203, 0x3722, v121, v185
	v_mul_f16_e64 v202, 0x3964, v150
	v_mul_f16_e64 v207, 0x31e1, v142
	v_add_f16_e64 v193, v196, v193
	v_fma_f16 v196, 0x3bf7, v120, v205
	v_add_f16_e64 v203, v29, v203
	v_fma_f16 v206, 0xb8d2, v122, v204
	v_fma_f16 v208, 0x39e9, v130, v202
	v_mul_f16_e64 v209, 0x3bb2, v144
	v_add_f16_e64 v193, v196, v193
	v_mul_f16_e64 v196, 0x39e9, v155
	v_mul_f16_e64 v155, 0x3b76, v155
	v_add_f16_e64 v203, v206, v203
	v_fma_f16 v206, 0xbbdd, v124, v207
	v_mul_f16_e64 v212, 0x2de8, v154
	v_mul_f16_e64 v154, 0x39e9, v154
	v_fma_f16 v228, 0x35c8, v119, v155
	v_add_f16_e64 v161, v208, v161
	v_add_f16_e64 v203, v206, v203
	v_fma_f16 v206, 0xb461, v125, v209
	v_mul_f16_e64 v208, 0x3964, v145
	v_mul_f16_e64 v215, 0xb8d2, v153
	v_add_f16_e64 v228, v102, v228
	v_fma_f16 v230, 0x3964, v118, v154
	v_mul_f16_e64 v153, 0x3722, v153
	v_add_f16_e32 v30, v30, v29
	v_mul_f16_e64 v210, 0xbacd, v149
	v_add_f16_e64 v203, v206, v203
	v_fma_f16 v206, 0x39e9, v126, v208
	v_mul_f16_e64 v213, 0xb5c8, v143
	v_mul_f16_e64 v217, 0xbbdd, v151
	v_add_f16_e64 v228, v230, v228
	v_fma_f16 v230, 0x3b29, v114, v153
	v_mul_f16_e64 v151, 0x2de8, v151
	v_add_f16_e32 v113, v113, v102
	v_add_f16_e32 v30, v31, v30
	v_add_f16_e64 v203, v206, v203
	v_fma_f16 v206, 0x3b76, v128, v213
	v_mul_f16_e64 v216, 0xbbf7, v146
	v_fma_f16 v218, 0x3836, v123, v210
	v_mul_f16_e64 v219, 0xbacd, v152
	v_add_f16_e64 v228, v230, v228
	v_fma_f16 v230, 0x3bf7, v115, v151
	v_mul_f16_e64 v152, 0xb461, v152
	v_add_f16_e32 v31, v112, v113
	v_add_f16_e32 v30, v32, v30
	v_add_f16_e64 v203, v206, v203
	v_fma_f16 v206, 0x2de8, v129, v216
	v_add_f16_e64 v193, v218, v193
	v_mul_f16_e64 v218, 0xb461, v138
	v_add_f16_e64 v228, v230, v228
	v_fma_f16 v230, 0x3bb2, v116, v152
	v_mul_f16_e64 v138, 0xb8d2, v138
	v_add_f16_e32 v31, v103, v31
	v_add_f16_e32 v30, v39, v30
	v_add_f16_e64 v203, v206, v203
	v_mul_f16_e64 v206, 0xb964, v139
	v_add_f16_e64 v228, v230, v228
	v_fma_f16 v112, 0x3a62, v117, v138
	v_mul_f16_e64 v139, 0xb5c8, v139
	v_add_f16_e32 v31, v111, v31
	v_add_f16_e32 v30, v40, v30
	v_mul_f16_e64 v39, 0xb964, v140
	v_add_f16_e64 v32, v112, v228
	v_fma_f16 v112, 0x3b76, v121, v139
	v_add_f16_e32 v31, v110, v31
	v_add_f16_e32 v30, v33, v30
	v_fmamk_f16 v40, v122, 0x39e9, v39
	v_mul_f16_e64 v110, 0xbb29, v142
	v_add_f16_e32 v112, v29, v112
	v_add_f16_e32 v31, v105, v31
	;; [unrolled: 1-line block ×3, first 2 shown]
	v_mul_f16_e64 v105, 0xbbf7, v144
	v_fmac_f16_e64 v169, 0xbbb2, v119
	v_add_f16_e32 v33, v40, v112
	v_fmamk_f16 v40, v124, 0x3722, v110
	v_add_f16_e32 v31, v109, v31
	v_add_f16_e32 v30, v35, v30
	v_fmac_f16_e64 v163, 0x3836, v118
	v_fmac_f16_e64 v162, 0x3964, v114
	v_add_f16_e32 v33, v40, v33
	v_fmamk_f16 v40, v125, 0x2de8, v105
	v_add_f16_e32 v31, v108, v31
	v_mul_f16_e64 v108, 0xbbb2, v145
	v_add_f16_e32 v30, v36, v30
	v_mul_f16_e64 v103, 0xbacd, v148
	v_add_f16_e32 v33, v40, v33
	v_add_f16_e32 v31, v104, v31
	v_fmamk_f16 v36, v126, 0xb461, v108
	v_mul_f16_e64 v40, 0xba62, v143
	v_add_f16_e32 v30, v37, v30
	v_add_f16_e64 v37, v102, v169
	v_add_f16_e32 v31, v107, v31
	v_add_f16_e32 v33, v36, v33
	v_fma_f16 v36, 0xb8d2, v128, v40
	v_add_f16_e32 v30, v38, v30
	v_add_f16_e64 v37, v163, v37
	v_add_f16_e32 v31, v106, v31
	v_fmac_f16_e64 v164, 0xbb29, v115
	v_add_f16_e32 v33, v36, v33
	v_mul_f16_e64 v36, 0xb836, v146
	v_add_f16_e32 v11, v11, v30
	v_add_f16_e32 v30, v51, v31
	v_add_f16_e64 v31, v162, v37
	v_mul_f16_e64 v38, 0xb1e1, v150
	v_fma_f16 v37, 0xbacd, v129, v36
	v_add_f16_e32 v11, v12, v11
	v_fmamk_f16 v111, v120, 0x3836, v103
	v_mul_f16_e64 v34, 0xbbdd, v149
	v_add_f16_e32 v12, v50, v30
	v_add_f16_e64 v30, v164, v31
	v_add_f16_e32 v31, v37, v33
	v_fma_f16 v33, 0xbbdd, v130, v38
	v_add_f16_e32 v9, v9, v11
	v_add_f16_e32 v32, v111, v32
	v_fmamk_f16 v35, v123, 0x31e1, v34
	v_fmac_f16_e64 v165, 0xb1e1, v116
	v_fmac_f16_e64 v172, 0xbbf7, v119
	v_add_f16_e32 v9, v10, v9
	v_add_f16_e32 v10, v33, v31
	v_fma_f16 v31, v121, 0xb461, -v166
	v_add_f16_e32 v11, v49, v12
	v_add_f16_e64 v12, v165, v30
	v_add_f16_e32 v30, v35, v32
	v_fma_f16 v32, v122, 0xbacd, -v168
	v_add_f16_e32 v31, v29, v31
	v_add_f16_e64 v33, v102, v172
	v_fmac_f16_e64 v176, 0xb1e1, v118
	v_fma_f16 v35, v121, 0x2de8, -v182
	v_fmac_f16_e64 v179, 0x3bb2, v114
	v_add_f16_e32 v31, v32, v31
	v_fma_f16 v32, v124, 0x39e9, -v171
	v_add_f16_e64 v33, v176, v33
	v_add_f16_e32 v35, v29, v35
	v_fma_f16 v37, v122, 0xbbdd, -v186
	v_fmac_f16_e64 v181, 0x35c8, v115
	v_add_f16_e32 v31, v32, v31
	v_fma_f16 v32, v125, 0x3722, -v173
	v_add_f16_e64 v33, v179, v33
	v_add_f16_e32 v35, v37, v35
	;; [unrolled: 6-line block ×6, first 2 shown]
	v_add_f16_e32 v35, v37, v35
	v_fma_f16 v37, v129, 0xb8d2, -v198
	v_add_f16_e32 v31, v32, v31
	v_fmac_f16_e64 v190, 0xbb29, v119
	v_add_f16_e64 v32, v192, v33
	v_fma_f16 v33, v121, 0x3722, -v185
	v_fma_f16 v211, 0x3964, v119, v196
	v_add_f16_e32 v9, v46, v9
	v_add_f16_e32 v11, v47, v11
	;; [unrolled: 1-line block ×3, first 2 shown]
	v_fma_f16 v37, v130, 0x39e9, -v202
	v_add_f16_e64 v46, v102, v190
	v_fmac_f16_e64 v194, 0xba62, v118
	v_add_f16_e32 v33, v29, v33
	v_fma_f16 v47, v122, 0xb8d2, -v204
	v_fmac_f16_e64 v196, 0xb964, v119
	v_add_f16_e64 v211, v102, v211
	v_fma_f16 v214, 0x3bf7, v118, v212
	v_add_f16_e32 v35, v37, v35
	v_add_f16_e64 v37, v194, v46
	v_add_f16_e32 v33, v47, v33
	v_fma_f16 v46, v124, 0xbbdd, -v207
	v_add_f16_e64 v47, v102, v196
	v_fmac_f16_e64 v212, 0xbbf7, v118
	v_add_f16_e64 v211, v214, v211
	v_fma_f16 v214, 0x3a62, v114, v215
	v_add_f16_e32 v33, v46, v33
	v_fma_f16 v46, v125, 0xb461, -v209
	v_add_f16_e64 v47, v212, v47
	v_fmac_f16_e64 v215, 0xba62, v114
	v_add_f16_e64 v211, v214, v211
	v_fma_f16 v214, 0x31e1, v115, v217
	;; [unrolled: 6-line block ×3, first 2 shown]
	v_fma_f16 v221, 0x39e9, v121, v206
	v_mul_f16_e64 v222, 0xbbf7, v140
	v_add_f16_e32 v33, v46, v33
	v_fma_f16 v46, v128, 0x3b76, -v213
	v_add_f16_e64 v47, v217, v47
	v_fmac_f16_e64 v219, 0x3836, v116
	v_add_f16_e64 v211, v214, v211
	v_fma_f16 v214, 0xbbb2, v117, v218
	v_mul_f16_e64 v223, 0x3722, v148
	v_add_f16_e64 v221, v29, v221
	v_fma_f16 v224, 0x2de8, v122, v222
	v_mul_f16_e64 v225, 0xba62, v142
	v_mul_f16_e64 v220, 0xb836, v150
	v_add_f16_e32 v33, v46, v33
	v_fma_f16 v46, v129, 0x2de8, -v216
	v_add_f16_e64 v47, v219, v47
	v_fmac_f16_e64 v218, 0x3bb2, v117
	v_add_f16_e64 v211, v214, v211
	v_fma_f16 v214, 0xbb29, v120, v223
	v_add_f16_e64 v221, v224, v221
	v_fma_f16 v224, 0xb8d2, v124, v225
	v_mul_f16_e64 v227, 0xb1e1, v144
	v_add_f16_e32 v33, v46, v33
	v_fma_f16 v46, v130, 0xbacd, -v220
	v_add_f16_e64 v47, v218, v47
	v_fmac_f16_e64 v223, 0x3b29, v120
	v_fma_f16 v48, v121, 0x39e9, -v206
	v_fmac_f16_e64 v155, 0xb5c8, v119
	v_fma_f16 v50, v121, 0x3b76, -v139
	v_add_f16_e64 v211, v214, v211
	v_add_f16_e64 v214, v224, v221
	v_fma_f16 v221, 0xbbdd, v125, v227
	v_mul_f16_e64 v224, 0x3836, v145
	v_add_f16_e32 v33, v46, v33
	v_add_f16_e64 v46, v223, v47
	v_add_f16_e32 v47, v29, v48
	v_fma_f16 v48, v122, 0x2de8, -v222
	v_add_f16_e64 v49, v102, v155
	v_fmac_f16_e64 v154, 0xb964, v118
	v_add_f16_e32 v29, v29, v50
	v_fma_f16 v39, v122, 0x39e9, -v39
	v_add_f16_e64 v214, v221, v214
	v_fma_f16 v221, 0xbacd, v126, v224
	v_mul_f16_e64 v229, 0x3bb2, v143
	v_fmac_f16_e64 v197, 0x31e1, v114
	v_add_f16_e32 v47, v48, v47
	v_fma_f16 v48, v124, 0xb8d2, -v225
	v_add_f16_e64 v49, v154, v49
	v_fmac_f16_e64 v153, 0xbb29, v114
	v_add_f16_e32 v29, v39, v29
	v_fma_f16 v39, v124, 0x3722, -v110
	v_fma_f16 v226, 0xbacd, v130, v220
	v_add_f16_e64 v214, v221, v214
	v_fma_f16 v221, 0xb461, v128, v229
	v_mul_f16_e64 v231, 0x3b29, v146
	v_add_f16_e64 v37, v197, v37
	v_fmac_f16_e64 v199, 0x3bb2, v115
	v_add_f16_e32 v47, v48, v47
	v_fma_f16 v48, v125, 0xbbdd, -v227
	v_add_f16_e64 v49, v153, v49
	v_fmac_f16_e64 v151, 0xbbf7, v115
	v_add_f16_e32 v29, v39, v29
	v_fma_f16 v39, v125, 0x2de8, -v105
	v_add_f16_e64 v203, v226, v203
	v_mul_f16_e64 v226, 0x3b76, v149
	v_add_f16_e64 v214, v221, v214
	v_fma_f16 v221, 0x3722, v129, v231
	v_add_f16_e64 v37, v199, v37
	v_fmac_f16_e64 v201, 0x3964, v116
	v_add_f16_e32 v47, v48, v47
	v_fma_f16 v48, v126, 0xbacd, -v224
	v_add_f16_e64 v49, v151, v49
	v_fmac_f16_e64 v152, 0xbbb2, v116
	v_add_f16_e32 v29, v39, v29
	v_fma_f16 v39, v126, 0xb461, -v108
	v_fma_f16 v232, 0xb5c8, v123, v226
	v_add_f16_e64 v214, v221, v214
	v_mul_f16_e64 v221, 0x35c8, v150
	v_fmac_f16_e64 v167, 0x3bf7, v117
	v_add_f16_e64 v37, v201, v37
	v_fmac_f16_e64 v200, 0xb5c8, v117
	v_add_f16_e32 v47, v48, v47
	v_fma_f16 v48, v128, 0xb461, -v229
	v_add_f16_e64 v49, v152, v49
	v_fmac_f16_e64 v138, 0xba62, v117
	v_add_f16_e32 v29, v39, v29
	v_fma_f16 v39, v128, 0xb8d2, -v40
	v_add_f16_e64 v211, v232, v211
	v_fma_f16 v232, 0x3b76, v130, v221
	v_add_f16_e64 v12, v167, v12
	v_fmac_f16_e64 v170, 0xb5c8, v120
	v_add_f16_e64 v37, v200, v37
	v_fmac_f16_e64 v205, 0xbbf7, v120
	v_add_f16_e32 v47, v48, v47
	v_fma_f16 v48, v129, 0x3722, -v231
	v_add_f16_e64 v49, v138, v49
	v_fmac_f16_e32 v103, 0xb836, v120
	v_add_f16_e32 v29, v39, v29
	v_fma_f16 v36, v129, 0xbacd, -v36
	v_and_b32_e32 v45, 0xffff, v45
	v_add_f16_e64 v113, v232, v214
	v_add_f16_e64 v12, v170, v12
	v_fmac_f16_e64 v175, 0xba62, v123
	v_fmac_f16_e64 v226, 0x35c8, v123
	v_add_f16_e64 v37, v205, v37
	v_fmac_f16_e64 v210, 0xb836, v123
	v_add_f16_e32 v40, v48, v47
	v_fma_f16 v47, v130, 0x3b76, -v221
	v_add_f16_e32 v48, v103, v49
	v_fmac_f16_e32 v34, 0xb1e1, v123
	v_add_f16_e32 v29, v36, v29
	v_fma_f16 v36, v130, 0xbbdd, -v38
	v_lshlrev_b32_e32 v38, 2, v45
	v_pack_b32_f16 v10, v10, v30
	v_pack_b32_f16 v9, v9, v11
	;; [unrolled: 1-line block ×4, first 2 shown]
	v_add_f16_e64 v12, v175, v12
	v_add_f16_e64 v39, v226, v46
	v_pack_b32_f16 v45, v159, v158
	v_pack_b32_f16 v46, v161, v160
	v_add_f16_e64 v37, v210, v37
	v_add_f16_e32 v40, v47, v40
	v_add_f16_e32 v34, v34, v48
	v_pack_b32_f16 v47, v147, v141
	v_pack_b32_f16 v48, v157, v156
	v_add_f16_e32 v29, v36, v29
	ds_store_2addr_b32 v38, v9, v10 offset1:1
	ds_store_2addr_b32 v38, v30, v11 offset0:2 offset1:3
	ds_store_2addr_b32 v38, v46, v45 offset0:4 offset1:5
	;; [unrolled: 1-line block ×3, first 2 shown]
	v_pack_b32_f16 v9, v135, v134
	v_pack_b32_f16 v10, v137, v136
	;; [unrolled: 1-line block ×9, first 2 shown]
	ds_store_2addr_b32 v38, v10, v9 offset0:8 offset1:9
	ds_store_2addr_b32 v38, v30, v11 offset0:10 offset1:11
	;; [unrolled: 1-line block ×4, first 2 shown]
	ds_store_b32 v38, v29 offset:64
.LBB0_13:
	s_wait_alu 0xfffe
	s_or_b32 exec_lo, exec_lo, s0
	v_add_nc_u32_e32 v9, 0x800, v44
	v_add_nc_u32_e32 v10, 0x1200, v44
	global_wb scope:SCOPE_SE
	s_wait_dscnt 0x0
	s_barrier_signal -1
	s_barrier_wait -1
	global_inv scope:SCOPE_SE
	ds_load_2addr_b32 v[30:31], v44 offset1:153
	ds_load_2addr_b32 v[32:33], v9 offset0:100 offset1:253
	ds_load_2addr_b32 v[34:35], v10 offset0:72 offset1:225
	v_add_nc_u32_e32 v11, 0x400, v44
	v_add_nc_u32_e32 v12, 0xe00, v44
	;; [unrolled: 1-line block ×3, first 2 shown]
	ds_load_2addr_b32 v[36:37], v11 offset0:50 offset1:203
	ds_load_2addr_b32 v[38:39], v12 offset0:22 offset1:175
	ds_load_2addr_b32 v[45:46], v29 offset0:58 offset1:211
	global_wb scope:SCOPE_SE
	s_wait_dscnt 0x0
	s_barrier_signal -1
	s_barrier_wait -1
	global_inv scope:SCOPE_SE
	v_lshrrev_b32_e32 v40, 16, v30
	v_lshrrev_b32_e32 v48, 16, v32
	;; [unrolled: 1-line block ×5, first 2 shown]
	v_mul_f16_e32 v108, v69, v32
	v_mul_f16_e32 v109, v70, v34
	v_lshrrev_b32_e32 v103, 16, v38
	v_mul_f16_e32 v69, v69, v48
	v_mul_f16_e32 v70, v70, v49
	;; [unrolled: 1-line block ×4, first 2 shown]
	v_lshrrev_b32_e32 v104, 16, v45
	v_lshrrev_b32_e32 v106, 16, v39
	v_fma_f16 v48, v19, v48, -v108
	v_fmac_f16_e32 v69, v19, v32
	v_fmac_f16_e32 v70, v20, v34
	v_fma_f16 v19, v20, v49, -v109
	v_mul_f16_e32 v20, v68, v51
	v_fmac_f16_e32 v71, v17, v33
	v_mul_f16_e32 v32, v68, v35
	v_mul_f16_e32 v33, v67, v103
	;; [unrolled: 1-line block ×3, first 2 shown]
	v_lshrrev_b32_e32 v107, 16, v46
	v_fmac_f16_e32 v20, v18, v35
	v_fma_f16 v18, v18, v51, -v32
	v_mul_f16_e32 v32, v66, v104
	v_fmac_f16_e32 v33, v15, v38
	v_mul_f16_e32 v35, v66, v45
	v_fma_f16 v15, v15, v103, -v34
	v_mul_f16_e32 v34, v65, v106
	v_mul_f16_e32 v38, v65, v39
	v_fmac_f16_e32 v32, v16, v45
	v_fma_f16 v16, v16, v104, -v35
	v_mul_f16_e32 v35, v64, v107
	v_fmac_f16_e32 v34, v13, v39
	v_mul_f16_e32 v39, v64, v46
	v_fma_f16 v13, v13, v106, -v38
	v_add_f16_e32 v38, v69, v70
	v_fmac_f16_e32 v35, v14, v46
	v_add_f16_e32 v45, v30, v69
	v_fma_f16 v14, v14, v107, -v39
	v_add_f16_e32 v39, v48, v19
	v_fma_f16 v30, -0.5, v38, v30
	v_sub_f16_e32 v38, v48, v19
	v_fma_f16 v17, v17, v50, -v110
	v_add_f16_e32 v46, v40, v48
	v_fmac_f16_e32 v40, -0.5, v39
	v_sub_f16_e32 v39, v69, v70
	v_lshrrev_b32_e32 v47, 16, v31
	v_fmamk_f16 v48, v38, 0xbaee, v30
	v_fmac_f16_e32 v30, 0x3aee, v38
	v_add_f16_e32 v38, v71, v20
	v_add_f16_e32 v19, v46, v19
	v_fmamk_f16 v46, v39, 0x3aee, v40
	v_add_f16_e32 v49, v31, v71
	v_fmac_f16_e32 v40, 0xbaee, v39
	v_add_f16_e32 v39, v17, v18
	v_fmac_f16_e32 v31, -0.5, v38
	v_sub_f16_e32 v38, v17, v18
	v_add_f16_e32 v17, v47, v17
	v_add_f16_e32 v49, v49, v20
	v_fmac_f16_e32 v47, -0.5, v39
	v_sub_f16_e32 v20, v71, v20
	v_lshrrev_b32_e32 v102, 16, v36
	v_add_f16_e32 v17, v17, v18
	v_add_f16_e32 v18, v33, v32
	v_fmamk_f16 v39, v38, 0xbaee, v31
	v_fmac_f16_e32 v31, 0x3aee, v38
	v_fmamk_f16 v38, v20, 0x3aee, v47
	v_fmac_f16_e32 v47, 0xbaee, v20
	v_add_f16_e32 v20, v15, v16
	v_add_f16_e32 v50, v36, v33
	v_fma_f16 v18, -0.5, v18, v36
	v_sub_f16_e32 v36, v15, v16
	v_add_f16_e32 v15, v102, v15
	v_fmac_f16_e32 v102, -0.5, v20
	v_sub_f16_e32 v20, v33, v32
	v_lshrrev_b32_e32 v105, 16, v37
	v_add_f16_e32 v45, v45, v70
	v_add_f16_e32 v15, v15, v16
	;; [unrolled: 1-line block ×3, first 2 shown]
	v_fmamk_f16 v33, v20, 0x3aee, v102
	v_fmac_f16_e32 v102, 0xbaee, v20
	v_add_f16_e32 v20, v13, v14
	v_add_f16_e32 v50, v50, v32
	v_fmamk_f16 v32, v36, 0xbaee, v18
	v_fmac_f16_e32 v18, 0x3aee, v36
	v_add_f16_e32 v36, v37, v34
	v_fmac_f16_e32 v37, -0.5, v16
	v_sub_f16_e32 v16, v13, v14
	v_add_f16_e32 v13, v105, v13
	v_fmac_f16_e32 v105, -0.5, v20
	v_sub_f16_e32 v20, v34, v35
	v_add_f16_e32 v34, v36, v35
	v_fmamk_f16 v35, v16, 0xbaee, v37
	v_fmac_f16_e32 v37, 0x3aee, v16
	v_pack_b32_f16 v16, v45, v19
	v_pack_b32_f16 v19, v48, v46
	v_add_f16_e32 v13, v13, v14
	v_fmamk_f16 v14, v20, 0x3aee, v105
	v_fmac_f16_e32 v105, 0xbaee, v20
	v_pack_b32_f16 v20, v30, v40
	v_pack_b32_f16 v17, v49, v17
	v_pack_b32_f16 v30, v39, v38
	ds_store_2addr_b32 v52, v16, v19 offset1:17
	ds_store_b32 v52, v20 offset:136
	ds_store_2addr_b32 v55, v17, v30 offset1:17
	v_pack_b32_f16 v16, v31, v47
	v_pack_b32_f16 v15, v50, v15
	;; [unrolled: 1-line block ×7, first 2 shown]
	ds_store_b32 v55, v16 offset:136
	ds_store_2addr_b32 v54, v15, v17 offset1:17
	ds_store_b32 v54, v18 offset:136
	ds_store_2addr_b32 v53, v13, v14 offset1:17
	ds_store_b32 v53, v19 offset:136
	global_wb scope:SCOPE_SE
	s_wait_dscnt 0x0
	s_barrier_signal -1
	s_barrier_wait -1
	global_inv scope:SCOPE_SE
	ds_load_2addr_b32 v[13:14], v44 offset1:153
	ds_load_2addr_b32 v[15:16], v9 offset0:100 offset1:253
	ds_load_2addr_b32 v[17:18], v10 offset0:72 offset1:225
	;; [unrolled: 1-line block ×5, first 2 shown]
	global_wb scope:SCOPE_SE
	s_wait_dscnt 0x0
	s_barrier_signal -1
	s_barrier_wait -1
	global_inv scope:SCOPE_SE
	v_lshrrev_b32_e32 v34, 16, v13
	v_lshrrev_b32_e32 v35, 16, v15
	;; [unrolled: 1-line block ×4, first 2 shown]
	v_mul_f16_e32 v50, v98, v15
	v_lshrrev_b32_e32 v39, 16, v18
	v_mul_f16_e32 v48, v98, v35
	v_mul_f16_e32 v52, v95, v36
	v_lshrrev_b32_e32 v45, 16, v30
	v_lshrrev_b32_e32 v46, 16, v32
	;; [unrolled: 1-line block ×3, first 2 shown]
	v_fmac_f16_e32 v48, v27, v15
	v_mul_f16_e32 v15, v95, v17
	v_fma_f16 v27, v27, v35, -v50
	v_mul_f16_e32 v35, v92, v38
	v_fmac_f16_e32 v52, v28, v17
	v_mul_f16_e32 v17, v92, v16
	v_fma_f16 v15, v28, v36, -v15
	v_mul_f16_e32 v28, v89, v39
	;; [unrolled: 4-line block ×4, first 2 shown]
	v_lshrrev_b32_e32 v51, 16, v33
	v_fmac_f16_e32 v25, v23, v30
	v_mul_f16_e32 v30, v83, v32
	v_fma_f16 v18, v23, v45, -v18
	v_mul_f16_e32 v23, v81, v49
	v_fmac_f16_e32 v26, v24, v32
	v_mul_f16_e32 v32, v81, v31
	v_fma_f16 v24, v24, v46, -v30
	v_mul_f16_e32 v30, v79, v51
	v_fmac_f16_e32 v23, v21, v31
	v_mul_f16_e32 v31, v79, v33
	v_fma_f16 v21, v21, v49, -v32
	v_add_f16_e32 v32, v48, v52
	v_fmac_f16_e32 v30, v22, v33
	v_add_f16_e32 v33, v13, v48
	v_fma_f16 v22, v22, v51, -v31
	v_add_f16_e32 v31, v27, v15
	v_fma_f16 v13, -0.5, v32, v13
	v_sub_f16_e32 v32, v27, v15
	v_add_f16_e32 v27, v34, v27
	v_lshrrev_b32_e32 v37, 16, v14
	v_fmac_f16_e32 v34, -0.5, v31
	v_sub_f16_e32 v31, v48, v52
	v_fmamk_f16 v36, v32, 0xbaee, v13
	v_add_f16_e32 v15, v27, v15
	v_add_f16_e32 v27, v35, v28
	v_fmac_f16_e32 v13, 0x3aee, v32
	v_fmamk_f16 v32, v31, 0x3aee, v34
	v_add_f16_e32 v38, v14, v35
	v_fmac_f16_e32 v34, 0xbaee, v31
	v_add_f16_e32 v31, v17, v16
	v_fmac_f16_e32 v14, -0.5, v27
	v_sub_f16_e32 v27, v17, v16
	v_add_f16_e32 v17, v37, v17
	v_add_f16_e32 v38, v38, v28
	v_fmac_f16_e32 v37, -0.5, v31
	v_sub_f16_e32 v28, v35, v28
	v_lshrrev_b32_e32 v40, 16, v19
	v_add_f16_e32 v16, v17, v16
	v_add_f16_e32 v17, v25, v26
	v_fmamk_f16 v31, v27, 0xbaee, v14
	v_fmac_f16_e32 v14, 0x3aee, v27
	v_fmamk_f16 v27, v28, 0x3aee, v37
	v_fmac_f16_e32 v37, 0xbaee, v28
	v_add_f16_e32 v28, v18, v24
	v_add_f16_e32 v35, v19, v25
	v_fma_f16 v17, -0.5, v17, v19
	v_sub_f16_e32 v19, v18, v24
	v_add_f16_e32 v18, v40, v18
	v_fmac_f16_e32 v40, -0.5, v28
	v_sub_f16_e32 v25, v25, v26
	v_lshrrev_b32_e32 v47, 16, v20
	v_add_f16_e32 v35, v35, v26
	v_fmamk_f16 v26, v19, 0xbaee, v17
	v_fmac_f16_e32 v17, 0x3aee, v19
	v_add_f16_e32 v19, v23, v30
	v_add_f16_e32 v18, v18, v24
	v_fmamk_f16 v24, v25, 0x3aee, v40
	v_fmac_f16_e32 v40, 0xbaee, v25
	v_add_f16_e32 v25, v21, v22
	v_add_f16_e32 v33, v33, v52
	;; [unrolled: 1-line block ×3, first 2 shown]
	v_fmac_f16_e32 v20, -0.5, v19
	v_sub_f16_e32 v19, v21, v22
	v_add_f16_e32 v21, v47, v21
	v_fmac_f16_e32 v47, -0.5, v25
	v_sub_f16_e32 v23, v23, v30
	v_add_f16_e32 v25, v28, v30
	v_fmamk_f16 v28, v19, 0xbaee, v20
	v_fmac_f16_e32 v20, 0x3aee, v19
	v_add_f16_e32 v19, v21, v22
	v_pack_b32_f16 v15, v33, v15
	v_pack_b32_f16 v22, v36, v32
	;; [unrolled: 1-line block ×3, first 2 shown]
	v_fmamk_f16 v21, v23, 0x3aee, v47
	v_fmac_f16_e32 v47, 0xbaee, v23
	v_pack_b32_f16 v16, v38, v16
	v_pack_b32_f16 v23, v31, v27
	ds_store_2addr_b32 v60, v15, v22 offset1:51
	ds_store_b32 v60, v13 offset:408
	ds_store_2addr_b32 v63, v16, v23 offset1:51
	v_pack_b32_f16 v13, v14, v37
	v_pack_b32_f16 v14, v35, v18
	;; [unrolled: 1-line block ×7, first 2 shown]
	ds_store_b32 v63, v13 offset:408
	ds_store_2addr_b32 v62, v14, v15 offset1:51
	ds_store_b32 v62, v16 offset:408
	ds_store_2addr_b32 v61, v17, v18 offset1:51
	ds_store_b32 v61, v19 offset:408
	global_wb scope:SCOPE_SE
	s_wait_dscnt 0x0
	s_barrier_signal -1
	s_barrier_wait -1
	global_inv scope:SCOPE_SE
	ds_load_2addr_b32 v[13:14], v44 offset1:153
	ds_load_2addr_b32 v[15:16], v12 offset0:22 offset1:175
	ds_load_2addr_b32 v[17:18], v11 offset0:50 offset1:203
	;; [unrolled: 1-line block ×5, first 2 shown]
	global_wb scope:SCOPE_SE
	s_wait_dscnt 0x0
	s_barrier_signal -1
	s_barrier_wait -1
	global_inv scope:SCOPE_SE
	v_lshrrev_b32_e32 v25, 16, v13
	v_lshrrev_b32_e32 v28, 16, v16
	;; [unrolled: 1-line block ×4, first 2 shown]
	v_mul_f16_e32 v38, v96, v15
	v_mul_f16_e32 v45, v96, v16
	;; [unrolled: 1-line block ×4, first 2 shown]
	v_lshrrev_b32_e32 v33, 16, v20
	v_lshrrev_b32_e32 v35, 16, v23
	;; [unrolled: 1-line block ×3, first 2 shown]
	v_fmac_f16_e32 v39, v76, v16
	v_mul_f16_e32 v16, v93, v31
	v_fmac_f16_e32 v37, v76, v15
	v_fma_f16 v15, v76, v26, -v38
	v_fma_f16 v26, v76, v28, -v45
	v_mul_f16_e32 v28, v93, v19
	v_mul_f16_e32 v38, v90, v33
	;; [unrolled: 1-line block ×3, first 2 shown]
	v_fmac_f16_e32 v16, v75, v19
	v_mul_f16_e32 v19, v87, v35
	v_fma_f16 v28, v75, v31, -v28
	v_mul_f16_e32 v31, v87, v23
	v_fmac_f16_e32 v38, v74, v20
	v_fma_f16 v20, v74, v33, -v45
	v_fmac_f16_e32 v19, v73, v23
	v_mul_f16_e32 v23, v84, v40
	v_mul_f16_e32 v33, v84, v24
	v_lshrrev_b32_e32 v27, 16, v14
	v_sub_f16_e32 v37, v13, v37
	v_sub_f16_e32 v15, v25, v15
	v_lshrrev_b32_e32 v30, 16, v17
	v_lshrrev_b32_e32 v32, 16, v18
	;; [unrolled: 1-line block ×3, first 2 shown]
	v_fma_f16 v31, v73, v35, -v31
	v_lshrrev_b32_e32 v36, 16, v22
	v_fmac_f16_e32 v23, v72, v24
	v_fma_f16 v24, v72, v40, -v33
	v_fma_f16 v13, v13, 2.0, -v37
	v_sub_f16_e32 v33, v14, v39
	v_fma_f16 v25, v25, 2.0, -v15
	v_sub_f16_e32 v26, v27, v26
	v_sub_f16_e32 v16, v17, v16
	;; [unrolled: 1-line block ×9, first 2 shown]
	v_fma_f16 v14, v14, 2.0, -v33
	v_fma_f16 v27, v27, 2.0, -v26
	v_pack_b32_f16 v13, v13, v25
	v_pack_b32_f16 v15, v37, v15
	v_fma_f16 v17, v17, 2.0, -v16
	v_fma_f16 v30, v30, 2.0, -v28
	;; [unrolled: 1-line block ×8, first 2 shown]
	ds_store_2addr_b32 v44, v13, v15 offset1:153
	v_pack_b32_f16 v13, v14, v27
	v_pack_b32_f16 v14, v33, v26
	;; [unrolled: 1-line block ×4, first 2 shown]
	v_add_nc_u32_e32 v17, 0x800, v59
	v_pack_b32_f16 v18, v18, v32
	v_pack_b32_f16 v20, v35, v20
	v_add_nc_u32_e32 v25, 0xe00, v58
	v_pack_b32_f16 v21, v21, v34
	v_pack_b32_f16 v19, v19, v31
	;; [unrolled: 3-line block ×3, first 2 shown]
	v_add_nc_u32_e32 v24, 0x1700, v56
	ds_store_2addr_b32 v11, v13, v14 offset0:50 offset1:203
	ds_store_2addr_b32 v17, v15, v16 offset0:100 offset1:253
	;; [unrolled: 1-line block ×5, first 2 shown]
	global_wb scope:SCOPE_SE
	s_wait_dscnt 0x0
	s_barrier_signal -1
	s_barrier_wait -1
	global_inv scope:SCOPE_SE
	ds_load_2addr_b32 v[13:14], v44 offset1:153
	ds_load_2addr_b32 v[15:16], v11 offset0:50 offset1:203
	ds_load_2addr_b32 v[17:18], v9 offset0:100 offset1:253
	;; [unrolled: 1-line block ×5, first 2 shown]
	s_wait_dscnt 0x5
	v_lshrrev_b32_e32 v25, 16, v13
	s_wait_dscnt 0x4
	v_lshrrev_b32_e32 v26, 16, v15
	;; [unrolled: 2-line block ×4, first 2 shown]
	v_mul_f16_e32 v38, v101, v15
	s_wait_dscnt 0x1
	v_lshrrev_b32_e32 v30, 16, v21
	v_mul_f16_e32 v36, v101, v26
	v_mul_f16_e32 v40, v100, v27
	s_wait_dscnt 0x0
	v_lshrrev_b32_e32 v31, 16, v23
	v_lshrrev_b32_e32 v33, 16, v16
	;; [unrolled: 1-line block ×3, first 2 shown]
	v_fmac_f16_e32 v36, v4, v15
	v_mul_f16_e32 v15, v100, v17
	v_fma_f16 v4, v4, v26, -v38
	v_mul_f16_e32 v26, v99, v28
	v_fmac_f16_e32 v40, v5, v17
	v_mul_f16_e32 v17, v99, v19
	v_fma_f16 v5, v5, v27, -v15
	v_mul_f16_e32 v15, v97, v30
	;; [unrolled: 4-line block ×3, first 2 shown]
	v_lshrrev_b32_e32 v35, 16, v20
	v_fmac_f16_e32 v15, v7, v21
	v_mul_f16_e32 v21, v94, v23
	v_fma_f16 v7, v7, v30, -v19
	v_mul_f16_e32 v19, v91, v33
	v_fmac_f16_e32 v17, v78, v23
	v_mul_f16_e32 v23, v91, v16
	v_lshrrev_b32_e32 v37, 16, v22
	v_mul_f16_e32 v27, v88, v34
	v_fmac_f16_e32 v19, v0, v16
	v_mul_f16_e32 v16, v88, v18
	v_fma_f16 v0, v0, v33, -v23
	v_mul_f16_e32 v23, v85, v35
	v_lshrrev_b32_e32 v39, 16, v24
	v_fmac_f16_e32 v27, v1, v18
	v_mul_f16_e32 v18, v85, v20
	v_fma_f16 v1, v1, v34, -v16
	v_mul_f16_e32 v16, v82, v37
	v_fmac_f16_e32 v23, v2, v20
	v_mul_f16_e32 v20, v82, v22
	v_fma_f16 v2, v2, v35, -v18
	v_mul_f16_e32 v18, v80, v39
	v_fmac_f16_e32 v16, v3, v22
	v_fma_f16 v21, v78, v31, -v21
	v_fma_f16 v3, v3, v37, -v20
	v_add_f16_e32 v20, v40, v15
	v_mul_f16_e32 v22, v80, v24
	v_fmac_f16_e32 v18, v77, v24
	v_add_f16_e32 v24, v13, v40
	v_add_f16_e32 v28, v5, v7
	v_fma_f16 v13, -0.5, v20, v13
	v_sub_f16_e32 v20, v5, v7
	v_add_f16_e32 v5, v25, v5
	v_add_f16_e32 v24, v24, v15
	v_fmac_f16_e32 v25, -0.5, v28
	v_sub_f16_e32 v15, v40, v15
	v_fmamk_f16 v28, v20, 0xbaee, v13
	v_fmac_f16_e32 v13, 0x3aee, v20
	v_add_f16_e32 v20, v6, v21
	v_add_f16_e32 v30, v26, v17
	;; [unrolled: 1-line block ×4, first 2 shown]
	v_fmamk_f16 v7, v15, 0x3aee, v25
	v_fmac_f16_e32 v4, -0.5, v20
	v_sub_f16_e32 v20, v26, v17
	v_add_f16_e32 v26, v36, v26
	v_fmac_f16_e32 v36, -0.5, v30
	v_sub_f16_e32 v6, v6, v21
	v_fmac_f16_e32 v25, 0xbaee, v15
	v_fmamk_f16 v15, v20, 0x3aee, v4
	v_fmac_f16_e32 v4, 0xbaee, v20
	v_add_f16_e32 v21, v31, v21
	v_fmamk_f16 v20, v6, 0xbaee, v36
	v_fmac_f16_e32 v36, 0x3aee, v6
	v_mul_f16_e32 v6, 0xbaee, v15
	v_mul_f16_e32 v15, 0.5, v15
	v_add_f16_e32 v17, v26, v17
	v_add_f16_e32 v33, v5, v21
	v_sub_f16_e32 v5, v5, v21
	v_add_f16_e32 v21, v27, v16
	v_fmac_f16_e32 v15, 0x3aee, v20
	v_lshrrev_b32_e32 v32, 16, v14
	v_fma_f16 v22, v77, v39, -v22
	v_mul_f16_e32 v26, 0xbaee, v4
	v_mul_f16_e32 v4, -0.5, v4
	v_add_f16_e32 v30, v24, v17
	v_add_f16_e32 v34, v7, v15
	v_sub_f16_e32 v17, v24, v17
	v_sub_f16_e32 v7, v7, v15
	v_add_f16_e32 v15, v14, v27
	v_add_f16_e32 v24, v1, v3
	v_fmac_f16_e32 v14, -0.5, v21
	v_sub_f16_e32 v21, v1, v3
	v_fmac_f16_e32 v26, -0.5, v36
	v_fmac_f16_e32 v4, 0x3aee, v36
	v_add_f16_e32 v1, v32, v1
	v_fmac_f16_e32 v32, -0.5, v24
	v_fmamk_f16 v24, v21, 0xbaee, v14
	v_fmac_f16_e32 v14, 0x3aee, v21
	v_add_f16_e32 v21, v2, v22
	v_add_f16_e32 v31, v13, v26
	;; [unrolled: 1-line block ×3, first 2 shown]
	v_sub_f16_e32 v13, v13, v26
	v_sub_f16_e32 v4, v25, v4
	v_add_f16_e32 v15, v15, v16
	v_sub_f16_e32 v16, v27, v16
	v_add_f16_e32 v25, v23, v18
	v_add_f16_e32 v26, v0, v2
	v_fmac_f16_e32 v0, -0.5, v21
	v_sub_f16_e32 v21, v23, v18
	v_add_f16_e32 v1, v1, v3
	v_fmamk_f16 v3, v16, 0x3aee, v32
	v_add_f16_e32 v23, v19, v23
	v_fmac_f16_e32 v19, -0.5, v25
	v_sub_f16_e32 v2, v2, v22
	v_fmac_f16_e32 v32, 0xbaee, v16
	v_fmamk_f16 v16, v21, 0x3aee, v0
	v_fmac_f16_e32 v0, 0xbaee, v21
	v_add_f16_e32 v18, v23, v18
	v_fmamk_f16 v21, v2, 0xbaee, v19
	v_fmac_f16_e32 v19, 0x3aee, v2
	v_mul_f16_e32 v2, 0xbaee, v16
	v_mul_f16_e32 v16, 0.5, v16
	v_mul_f16_e32 v23, 0xbaee, v0
	v_mul_f16_e32 v0, -0.5, v0
	v_fmac_f16_e32 v6, 0.5, v20
	v_add_f16_e32 v22, v26, v22
	v_fmac_f16_e32 v2, 0.5, v21
	v_fmac_f16_e32 v16, 0x3aee, v21
	v_fmac_f16_e32 v23, -0.5, v19
	v_fmac_f16_e32 v0, 0x3aee, v19
	v_add_f16_e32 v20, v28, v6
	v_sub_f16_e32 v6, v28, v6
	v_add_f16_e32 v25, v15, v18
	v_add_f16_e32 v19, v24, v2
	;; [unrolled: 1-line block ×6, first 2 shown]
	v_sub_f16_e32 v15, v15, v18
	v_sub_f16_e32 v1, v1, v22
	;; [unrolled: 1-line block ×6, first 2 shown]
	v_pack_b32_f16 v16, v30, v33
	v_pack_b32_f16 v18, v20, v34
	;; [unrolled: 1-line block ×12, first 2 shown]
	ds_store_2addr_b32 v44, v16, v20 offset1:153
	ds_store_2addr_b32 v11, v18, v7 offset0:50 offset1:203
	ds_store_2addr_b32 v9, v22, v13 offset0:100 offset1:253
	;; [unrolled: 1-line block ×5, first 2 shown]
	global_wb scope:SCOPE_SE
	s_wait_dscnt 0x0
	s_barrier_signal -1
	s_barrier_wait -1
	global_inv scope:SCOPE_SE
	s_and_b32 exec_lo, exec_lo, vcc_lo
	s_cbranch_execz .LBB0_15
; %bb.14:
	global_load_b32 v0, v41, s[12:13]
	ds_load_b32 v1, v44
	s_mov_b32 s8, 0x672e4abd
	s_mov_b32 s9, 0x3f41d8f5
	v_mad_co_u64_u32 v[6:7], null, s4, v42, 0
	s_wait_dscnt 0x0
	v_lshrrev_b32_e32 v2, 16, v1
	s_wait_loadcnt 0x0
	v_lshrrev_b32_e32 v3, 16, v0
	s_delay_alu instid0(VALU_DEP_1) | instskip(SKIP_1) | instid1(VALU_DEP_2)
	v_mul_f16_e32 v4, v2, v3
	v_mul_f16_e32 v3, v1, v3
	v_fmac_f16_e32 v4, v1, v0
	s_delay_alu instid0(VALU_DEP_2) | instskip(NEXT) | instid1(VALU_DEP_2)
	v_fma_f16 v0, v0, v2, -v3
	v_cvt_f32_f16_e32 v1, v4
	s_delay_alu instid0(VALU_DEP_2) | instskip(SKIP_1) | instid1(VALU_DEP_3)
	v_cvt_f32_f16_e32 v2, v0
	v_mad_co_u64_u32 v[4:5], null, s6, v8, 0
	v_cvt_f64_f32_e32 v[0:1], v1
	s_delay_alu instid0(VALU_DEP_3) | instskip(SKIP_1) | instid1(VALU_DEP_2)
	v_cvt_f64_f32_e32 v[2:3], v2
	s_wait_alu 0xfffe
	v_mul_f64_e32 v[0:1], s[8:9], v[0:1]
	s_delay_alu instid0(VALU_DEP_2) | instskip(NEXT) | instid1(VALU_DEP_2)
	v_mul_f64_e32 v[2:3], s[8:9], v[2:3]
	v_and_or_b32 v0, 0x1ff, v1, v0
	s_delay_alu instid0(VALU_DEP_2)
	v_and_or_b32 v2, 0x1ff, v3, v2
	v_lshrrev_b32_e32 v9, 8, v1
	v_bfe_u32 v10, v1, 20, 11
	v_bfe_u32 v12, v3, 20, 11
	v_cmp_ne_u32_e32 vcc_lo, 0, v0
	v_lshrrev_b32_e32 v11, 8, v3
	v_mov_b32_e32 v0, v7
	v_sub_nc_u32_e32 v14, 0x3f1, v10
	v_sub_nc_u32_e32 v15, 0x3f1, v12
	v_cndmask_b32_e64 v13, 0, 1, vcc_lo
	v_cmp_ne_u32_e32 vcc_lo, 0, v2
	v_mad_co_u64_u32 v[7:8], null, s7, v8, v[5:6]
	v_add_nc_u32_e32 v12, 0xfffffc10, v12
	s_delay_alu instid0(VALU_DEP_4) | instskip(SKIP_4) | instid1(VALU_DEP_3)
	v_and_or_b32 v13, 0xffe, v9, v13
	s_wait_alu 0xfffd
	v_cndmask_b32_e64 v2, 0, 1, vcc_lo
	v_lshrrev_b32_e32 v3, 16, v3
	v_mov_b32_e32 v5, v7
	v_and_or_b32 v2, 0xffe, v11, v2
	v_med3_i32 v11, v14, 0, 13
	v_med3_i32 v14, v15, 0, 13
	v_or_b32_e32 v15, 0x1000, v13
	v_mad_co_u64_u32 v[8:9], null, s5, v42, v[0:1]
	v_or_b32_e32 v16, 0x1000, v2
	v_lshlrev_b64_e32 v[4:5], 2, v[4:5]
	s_delay_alu instid0(VALU_DEP_4) | instskip(SKIP_1) | instid1(VALU_DEP_3)
	v_lshrrev_b32_e32 v0, v11, v15
	s_mul_u64 s[4:5], s[4:5], 0x1b0
	v_lshrrev_b32_e32 v9, v14, v16
	v_mov_b32_e32 v7, v8
	s_delay_alu instid0(VALU_DEP_3) | instskip(NEXT) | instid1(VALU_DEP_3)
	v_lshlrev_b32_e32 v11, v11, v0
	v_lshlrev_b32_e32 v8, v14, v9
	s_delay_alu instid0(VALU_DEP_2) | instskip(SKIP_2) | instid1(VALU_DEP_3)
	v_cmp_ne_u32_e32 vcc_lo, v11, v15
	s_wait_alu 0xfffd
	v_cndmask_b32_e64 v11, 0, 1, vcc_lo
	v_cmp_ne_u32_e32 vcc_lo, v8, v16
	s_delay_alu instid0(VALU_DEP_2) | instskip(SKIP_3) | instid1(VALU_DEP_2)
	v_or_b32_e32 v0, v0, v11
	s_wait_alu 0xfffd
	v_cndmask_b32_e64 v8, 0, 1, vcc_lo
	v_lshl_or_b32 v11, v12, 12, v2
	v_or_b32_e32 v8, v9, v8
	v_add_nc_u32_e32 v10, 0xfffffc10, v10
	v_lshrrev_b32_e32 v9, 16, v1
	s_delay_alu instid0(VALU_DEP_2) | instskip(SKIP_2) | instid1(VALU_DEP_2)
	v_lshl_or_b32 v14, v10, 12, v13
	v_cmp_gt_i32_e32 vcc_lo, 1, v10
	s_wait_alu 0xfffd
	v_cndmask_b32_e32 v0, v14, v0, vcc_lo
	v_cmp_gt_i32_e32 vcc_lo, 1, v12
	s_wait_alu 0xfffd
	v_cndmask_b32_e32 v1, v11, v8, vcc_lo
	v_cmp_ne_u32_e32 vcc_lo, 0, v13
	s_delay_alu instid0(VALU_DEP_2)
	v_and_b32_e32 v13, 7, v1
	s_wait_alu 0xfffd
	v_cndmask_b32_e64 v8, 0, 1, vcc_lo
	v_and_b32_e32 v11, 7, v0
	v_cmp_ne_u32_e32 vcc_lo, 0, v2
	v_lshrrev_b32_e32 v0, 2, v0
	v_cmp_lt_i32_e64 s1, 5, v13
	v_cmp_eq_u32_e64 s2, 3, v13
	v_cmp_eq_u32_e64 s0, 3, v11
	s_wait_alu 0xfffd
	v_cndmask_b32_e64 v2, 0, 1, vcc_lo
	v_cmp_lt_i32_e32 vcc_lo, 5, v11
	v_lshrrev_b32_e32 v1, 2, v1
	v_lshl_or_b32 v8, v8, 9, 0x7c00
	s_delay_alu instid0(VALU_DEP_4)
	v_lshl_or_b32 v2, v2, 9, 0x7c00
	s_or_b32 vcc_lo, s0, vcc_lo
	s_wait_alu 0xfffe
	v_add_co_ci_u32_e32 v0, vcc_lo, 0, v0, vcc_lo
	s_or_b32 vcc_lo, s2, s1
	s_wait_alu 0xfffe
	v_add_co_ci_u32_e32 v1, vcc_lo, 0, v1, vcc_lo
	v_cmp_gt_i32_e32 vcc_lo, 31, v10
	s_wait_alu 0xfffd
	v_cndmask_b32_e32 v0, 0x7c00, v0, vcc_lo
	v_cmp_gt_i32_e32 vcc_lo, 31, v12
	s_wait_alu 0xfffd
	v_cndmask_b32_e32 v11, 0x7c00, v1, vcc_lo
	v_cmp_eq_u32_e32 vcc_lo, 0x40f, v10
	s_wait_alu 0xfffd
	v_cndmask_b32_e32 v8, v0, v8, vcc_lo
	v_cmp_eq_u32_e32 vcc_lo, 0x40f, v12
	v_lshlrev_b64_e32 v[0:1], 2, v[6:7]
	s_delay_alu instid0(VALU_DEP_3)
	v_and_or_b32 v6, 0x8000, v9, v8
	s_wait_alu 0xfffd
	v_cndmask_b32_e32 v2, v11, v2, vcc_lo
	v_add_co_u32 v4, vcc_lo, s14, v4
	s_wait_alu 0xfffd
	v_add_co_ci_u32_e32 v5, vcc_lo, s15, v5, vcc_lo
	s_delay_alu instid0(VALU_DEP_3) | instskip(SKIP_4) | instid1(VALU_DEP_3)
	v_and_or_b32 v2, 0x8000, v3, v2
	v_and_b32_e32 v3, 0xffff, v6
	v_add_co_u32 v0, vcc_lo, v4, v0
	s_wait_alu 0xfffd
	v_add_co_ci_u32_e32 v1, vcc_lo, v5, v1, vcc_lo
	v_lshl_or_b32 v2, v2, 16, v3
	global_store_b32 v[0:1], v2, off
	global_load_b32 v4, v41, s[12:13] offset:432
	ds_load_2addr_b32 v[2:3], v43 offset0:108 offset1:216
	s_wait_dscnt 0x0
	v_lshrrev_b32_e32 v5, 16, v2
	s_wait_loadcnt 0x0
	v_lshrrev_b32_e32 v6, 16, v4
	s_delay_alu instid0(VALU_DEP_1) | instskip(SKIP_1) | instid1(VALU_DEP_2)
	v_mul_f16_e32 v7, v5, v6
	v_mul_f16_e32 v6, v2, v6
	v_fmac_f16_e32 v7, v2, v4
	s_delay_alu instid0(VALU_DEP_2) | instskip(NEXT) | instid1(VALU_DEP_2)
	v_fma_f16 v2, v4, v5, -v6
	v_cvt_f32_f16_e32 v4, v7
	s_delay_alu instid0(VALU_DEP_2) | instskip(NEXT) | instid1(VALU_DEP_2)
	v_cvt_f32_f16_e32 v2, v2
	v_cvt_f64_f32_e32 v[4:5], v4
	s_delay_alu instid0(VALU_DEP_2) | instskip(NEXT) | instid1(VALU_DEP_2)
	v_cvt_f64_f32_e32 v[6:7], v2
	v_mul_f64_e32 v[4:5], s[8:9], v[4:5]
	s_delay_alu instid0(VALU_DEP_2) | instskip(NEXT) | instid1(VALU_DEP_2)
	v_mul_f64_e32 v[6:7], s[8:9], v[6:7]
	v_and_or_b32 v2, 0x1ff, v5, v4
	s_delay_alu instid0(VALU_DEP_2)
	v_and_or_b32 v6, 0x1ff, v7, v6
	v_lshrrev_b32_e32 v4, 8, v5
	v_bfe_u32 v8, v5, 20, 11
	v_lshrrev_b32_e32 v9, 8, v7
	v_cmp_ne_u32_e32 vcc_lo, 0, v2
	v_bfe_u32 v10, v7, 20, 11
	v_lshrrev_b32_e32 v5, 16, v5
	v_sub_nc_u32_e32 v11, 0x3f1, v8
	v_add_nc_u32_e32 v8, 0xfffffc10, v8
	s_wait_alu 0xfffd
	v_cndmask_b32_e64 v2, 0, 1, vcc_lo
	v_cmp_ne_u32_e32 vcc_lo, 0, v6
	v_lshrrev_b32_e32 v7, 16, v7
	s_delay_alu instid0(VALU_DEP_3) | instskip(SKIP_4) | instid1(VALU_DEP_3)
	v_and_or_b32 v2, 0xffe, v4, v2
	s_wait_alu 0xfffd
	v_cndmask_b32_e64 v6, 0, 1, vcc_lo
	v_sub_nc_u32_e32 v4, 0x3f1, v10
	v_add_nc_u32_e32 v10, 0xfffffc10, v10
	v_and_or_b32 v6, 0xffe, v9, v6
	v_med3_i32 v9, v11, 0, 13
	v_or_b32_e32 v11, 0x1000, v2
	v_med3_i32 v4, v4, 0, 13
	s_delay_alu instid0(VALU_DEP_4) | instskip(NEXT) | instid1(VALU_DEP_3)
	v_or_b32_e32 v12, 0x1000, v6
	v_lshrrev_b32_e32 v13, v9, v11
	s_delay_alu instid0(VALU_DEP_2) | instskip(NEXT) | instid1(VALU_DEP_2)
	v_lshrrev_b32_e32 v14, v4, v12
	v_lshlrev_b32_e32 v9, v9, v13
	s_delay_alu instid0(VALU_DEP_2) | instskip(NEXT) | instid1(VALU_DEP_2)
	v_lshlrev_b32_e32 v4, v4, v14
	v_cmp_ne_u32_e32 vcc_lo, v9, v11
	v_lshl_or_b32 v11, v8, 12, v2
	s_wait_alu 0xfffd
	v_cndmask_b32_e64 v9, 0, 1, vcc_lo
	v_cmp_ne_u32_e32 vcc_lo, v4, v12
	v_lshl_or_b32 v12, v10, 12, v6
	s_delay_alu instid0(VALU_DEP_3) | instskip(SKIP_3) | instid1(VALU_DEP_2)
	v_or_b32_e32 v9, v13, v9
	s_wait_alu 0xfffd
	v_cndmask_b32_e64 v4, 0, 1, vcc_lo
	v_cmp_gt_i32_e32 vcc_lo, 1, v8
	v_or_b32_e32 v4, v14, v4
	s_wait_alu 0xfffd
	v_cndmask_b32_e32 v9, v11, v9, vcc_lo
	v_cmp_gt_i32_e32 vcc_lo, 1, v10
	s_wait_alu 0xfffd
	s_delay_alu instid0(VALU_DEP_2) | instskip(SKIP_2) | instid1(VALU_DEP_3)
	v_dual_cndmask_b32 v4, v12, v4 :: v_dual_and_b32 v11, 7, v9
	v_cmp_ne_u32_e32 vcc_lo, 0, v2
	v_lshrrev_b32_e32 v9, 2, v9
	v_cmp_eq_u32_e64 s0, 3, v11
	s_wait_alu 0xfffd
	v_cndmask_b32_e64 v2, 0, 1, vcc_lo
	v_cmp_ne_u32_e32 vcc_lo, 0, v6
	s_delay_alu instid0(VALU_DEP_2) | instskip(SKIP_3) | instid1(VALU_DEP_2)
	v_lshl_or_b32 v2, v2, 9, 0x7c00
	s_wait_alu 0xfffd
	v_cndmask_b32_e64 v6, 0, 1, vcc_lo
	v_cmp_lt_i32_e32 vcc_lo, 5, v11
	v_lshl_or_b32 v6, v6, 9, 0x7c00
	s_or_b32 vcc_lo, s0, vcc_lo
	s_wait_alu 0xfffe
	v_add_co_ci_u32_e32 v9, vcc_lo, 0, v9, vcc_lo
	v_and_b32_e32 v12, 7, v4
	v_lshrrev_b32_e32 v4, 2, v4
	s_delay_alu instid0(VALU_DEP_2) | instskip(SKIP_1) | instid1(VALU_DEP_1)
	v_cmp_lt_i32_e64 s1, 5, v12
	v_cmp_eq_u32_e64 s2, 3, v12
	s_or_b32 vcc_lo, s2, s1
	s_wait_alu 0xfffe
	v_add_co_ci_u32_e32 v4, vcc_lo, 0, v4, vcc_lo
	v_cmp_gt_i32_e32 vcc_lo, 31, v8
	s_wait_alu 0xfffd
	v_cndmask_b32_e32 v9, 0x7c00, v9, vcc_lo
	v_cmp_gt_i32_e32 vcc_lo, 31, v10
	s_wait_alu 0xfffd
	v_cndmask_b32_e32 v4, 0x7c00, v4, vcc_lo
	v_cmp_eq_u32_e32 vcc_lo, 0x40f, v8
	s_wait_alu 0xfffd
	v_cndmask_b32_e32 v2, v9, v2, vcc_lo
	v_cmp_eq_u32_e32 vcc_lo, 0x40f, v10
	s_delay_alu instid0(VALU_DEP_2)
	v_and_or_b32 v2, 0x8000, v5, v2
	s_wait_alu 0xfffd
	v_cndmask_b32_e32 v4, v4, v6, vcc_lo
	v_add_co_u32 v0, vcc_lo, v0, s4
	s_wait_alu 0xfffd
	v_add_co_ci_u32_e32 v1, vcc_lo, s5, v1, vcc_lo
	s_delay_alu instid0(VALU_DEP_3) | instskip(SKIP_1) | instid1(VALU_DEP_1)
	v_and_or_b32 v4, 0x8000, v7, v4
	v_and_b32_e32 v2, 0xffff, v2
	v_lshl_or_b32 v2, v4, 16, v2
	v_lshrrev_b32_e32 v4, 16, v3
	global_store_b32 v[0:1], v2, off
	global_load_b32 v2, v41, s[12:13] offset:864
	s_wait_loadcnt 0x0
	v_lshrrev_b32_e32 v5, 16, v2
	s_delay_alu instid0(VALU_DEP_1) | instskip(SKIP_1) | instid1(VALU_DEP_2)
	v_mul_f16_e32 v6, v4, v5
	v_mul_f16_e32 v5, v3, v5
	v_fmac_f16_e32 v6, v3, v2
	s_delay_alu instid0(VALU_DEP_2) | instskip(NEXT) | instid1(VALU_DEP_2)
	v_fma_f16 v2, v2, v4, -v5
	v_cvt_f32_f16_e32 v3, v6
	s_delay_alu instid0(VALU_DEP_2) | instskip(NEXT) | instid1(VALU_DEP_2)
	v_cvt_f32_f16_e32 v4, v2
	v_cvt_f64_f32_e32 v[2:3], v3
	s_delay_alu instid0(VALU_DEP_2) | instskip(NEXT) | instid1(VALU_DEP_2)
	v_cvt_f64_f32_e32 v[4:5], v4
	v_mul_f64_e32 v[2:3], s[8:9], v[2:3]
	s_delay_alu instid0(VALU_DEP_2) | instskip(NEXT) | instid1(VALU_DEP_2)
	v_mul_f64_e32 v[4:5], s[8:9], v[4:5]
	v_and_or_b32 v2, 0x1ff, v3, v2
	s_delay_alu instid0(VALU_DEP_2)
	v_and_or_b32 v4, 0x1ff, v5, v4
	v_lshrrev_b32_e32 v6, 8, v3
	v_bfe_u32 v7, v3, 20, 11
	v_lshrrev_b32_e32 v8, 8, v5
	v_cmp_ne_u32_e32 vcc_lo, 0, v2
	v_bfe_u32 v9, v5, 20, 11
	v_lshrrev_b32_e32 v3, 16, v3
	v_sub_nc_u32_e32 v10, 0x3f1, v7
	v_add_nc_u32_e32 v7, 0xfffffc10, v7
	s_wait_alu 0xfffd
	v_cndmask_b32_e64 v2, 0, 1, vcc_lo
	v_cmp_ne_u32_e32 vcc_lo, 0, v4
	v_lshrrev_b32_e32 v5, 16, v5
	s_delay_alu instid0(VALU_DEP_3) | instskip(SKIP_3) | instid1(VALU_DEP_2)
	v_and_or_b32 v2, 0xffe, v6, v2
	s_wait_alu 0xfffd
	v_cndmask_b32_e64 v4, 0, 1, vcc_lo
	v_sub_nc_u32_e32 v6, 0x3f1, v9
	v_and_or_b32 v4, 0xffe, v8, v4
	v_med3_i32 v8, v10, 0, 13
	v_or_b32_e32 v10, 0x1000, v2
	s_delay_alu instid0(VALU_DEP_4) | instskip(NEXT) | instid1(VALU_DEP_4)
	v_med3_i32 v6, v6, 0, 13
	v_or_b32_e32 v11, 0x1000, v4
	s_delay_alu instid0(VALU_DEP_3) | instskip(NEXT) | instid1(VALU_DEP_2)
	v_lshrrev_b32_e32 v12, v8, v10
	v_lshrrev_b32_e32 v13, v6, v11
	s_delay_alu instid0(VALU_DEP_2) | instskip(NEXT) | instid1(VALU_DEP_2)
	v_lshlrev_b32_e32 v8, v8, v12
	v_lshlrev_b32_e32 v6, v6, v13
	s_delay_alu instid0(VALU_DEP_2) | instskip(SKIP_4) | instid1(VALU_DEP_2)
	v_cmp_ne_u32_e32 vcc_lo, v8, v10
	v_lshl_or_b32 v10, v7, 12, v2
	s_wait_alu 0xfffd
	v_cndmask_b32_e64 v8, 0, 1, vcc_lo
	v_cmp_ne_u32_e32 vcc_lo, v6, v11
	v_or_b32_e32 v8, v12, v8
	s_wait_alu 0xfffd
	v_cndmask_b32_e64 v6, 0, 1, vcc_lo
	v_cmp_gt_i32_e32 vcc_lo, 1, v7
	v_add_nc_u32_e32 v9, 0xfffffc10, v9
	s_delay_alu instid0(VALU_DEP_3) | instskip(SKIP_2) | instid1(VALU_DEP_3)
	v_or_b32_e32 v6, v13, v6
	s_wait_alu 0xfffd
	v_cndmask_b32_e32 v8, v10, v8, vcc_lo
	v_lshl_or_b32 v11, v9, 12, v4
	v_cmp_gt_i32_e32 vcc_lo, 1, v9
	s_delay_alu instid0(VALU_DEP_3)
	v_and_b32_e32 v10, 7, v8
	v_lshrrev_b32_e32 v8, 2, v8
	s_wait_alu 0xfffd
	v_cndmask_b32_e32 v6, v11, v6, vcc_lo
	v_cmp_ne_u32_e32 vcc_lo, 0, v2
	v_cmp_eq_u32_e64 s0, 3, v10
	s_delay_alu instid0(VALU_DEP_3)
	v_and_b32_e32 v11, 7, v6
	s_wait_alu 0xfffd
	v_cndmask_b32_e64 v2, 0, 1, vcc_lo
	v_cmp_ne_u32_e32 vcc_lo, 0, v4
	v_lshrrev_b32_e32 v6, 2, v6
	v_cmp_lt_i32_e64 s1, 5, v11
	v_cmp_eq_u32_e64 s2, 3, v11
	s_wait_alu 0xfffd
	v_cndmask_b32_e64 v4, 0, 1, vcc_lo
	v_cmp_lt_i32_e32 vcc_lo, 5, v10
	v_lshl_or_b32 v2, v2, 9, 0x7c00
	s_delay_alu instid0(VALU_DEP_3)
	v_lshl_or_b32 v4, v4, 9, 0x7c00
	s_or_b32 vcc_lo, s0, vcc_lo
	s_wait_alu 0xfffe
	v_add_co_ci_u32_e32 v8, vcc_lo, 0, v8, vcc_lo
	s_or_b32 vcc_lo, s2, s1
	s_wait_alu 0xfffe
	v_add_co_ci_u32_e32 v6, vcc_lo, 0, v6, vcc_lo
	v_cmp_gt_i32_e32 vcc_lo, 31, v7
	s_wait_alu 0xfffd
	v_cndmask_b32_e32 v8, 0x7c00, v8, vcc_lo
	v_cmp_gt_i32_e32 vcc_lo, 31, v9
	s_wait_alu 0xfffd
	v_cndmask_b32_e32 v6, 0x7c00, v6, vcc_lo
	v_cmp_eq_u32_e32 vcc_lo, 0x40f, v7
	s_wait_alu 0xfffd
	v_cndmask_b32_e32 v2, v8, v2, vcc_lo
	v_cmp_eq_u32_e32 vcc_lo, 0x40f, v9
	s_delay_alu instid0(VALU_DEP_2)
	v_and_or_b32 v2, 0x8000, v3, v2
	s_wait_alu 0xfffd
	v_cndmask_b32_e32 v4, v6, v4, vcc_lo
	v_add_co_u32 v0, vcc_lo, v0, s4
	s_wait_alu 0xfffd
	v_add_co_ci_u32_e32 v1, vcc_lo, s5, v1, vcc_lo
	s_delay_alu instid0(VALU_DEP_3) | instskip(SKIP_1) | instid1(VALU_DEP_1)
	v_and_or_b32 v3, 0x8000, v5, v4
	v_and_b32_e32 v2, 0xffff, v2
	v_lshl_or_b32 v2, v3, 16, v2
	global_store_b32 v[0:1], v2, off
	global_load_b32 v4, v41, s[12:13] offset:1296
	v_add_nc_u32_e32 v2, 0x400, v43
	ds_load_2addr_b32 v[2:3], v2 offset0:68 offset1:176
	s_wait_dscnt 0x0
	v_lshrrev_b32_e32 v5, 16, v2
	s_wait_loadcnt 0x0
	v_lshrrev_b32_e32 v6, 16, v4
	s_delay_alu instid0(VALU_DEP_1) | instskip(SKIP_1) | instid1(VALU_DEP_2)
	v_mul_f16_e32 v7, v5, v6
	v_mul_f16_e32 v6, v2, v6
	v_fmac_f16_e32 v7, v2, v4
	s_delay_alu instid0(VALU_DEP_2) | instskip(NEXT) | instid1(VALU_DEP_2)
	v_fma_f16 v2, v4, v5, -v6
	v_cvt_f32_f16_e32 v4, v7
	s_delay_alu instid0(VALU_DEP_2) | instskip(NEXT) | instid1(VALU_DEP_2)
	v_cvt_f32_f16_e32 v2, v2
	v_cvt_f64_f32_e32 v[4:5], v4
	s_delay_alu instid0(VALU_DEP_2) | instskip(NEXT) | instid1(VALU_DEP_2)
	v_cvt_f64_f32_e32 v[6:7], v2
	v_mul_f64_e32 v[4:5], s[8:9], v[4:5]
	s_delay_alu instid0(VALU_DEP_2) | instskip(NEXT) | instid1(VALU_DEP_2)
	v_mul_f64_e32 v[6:7], s[8:9], v[6:7]
	v_and_or_b32 v2, 0x1ff, v5, v4
	s_delay_alu instid0(VALU_DEP_2)
	v_and_or_b32 v6, 0x1ff, v7, v6
	v_lshrrev_b32_e32 v4, 8, v5
	v_bfe_u32 v8, v5, 20, 11
	v_lshrrev_b32_e32 v9, 8, v7
	v_cmp_ne_u32_e32 vcc_lo, 0, v2
	v_bfe_u32 v10, v7, 20, 11
	v_lshrrev_b32_e32 v5, 16, v5
	v_sub_nc_u32_e32 v11, 0x3f1, v8
	v_add_nc_u32_e32 v8, 0xfffffc10, v8
	s_wait_alu 0xfffd
	v_cndmask_b32_e64 v2, 0, 1, vcc_lo
	v_cmp_ne_u32_e32 vcc_lo, 0, v6
	v_lshrrev_b32_e32 v7, 16, v7
	s_delay_alu instid0(VALU_DEP_3) | instskip(SKIP_4) | instid1(VALU_DEP_3)
	v_and_or_b32 v2, 0xffe, v4, v2
	s_wait_alu 0xfffd
	v_cndmask_b32_e64 v6, 0, 1, vcc_lo
	v_sub_nc_u32_e32 v4, 0x3f1, v10
	v_add_nc_u32_e32 v10, 0xfffffc10, v10
	v_and_or_b32 v6, 0xffe, v9, v6
	v_med3_i32 v9, v11, 0, 13
	v_or_b32_e32 v11, 0x1000, v2
	v_med3_i32 v4, v4, 0, 13
	s_delay_alu instid0(VALU_DEP_4) | instskip(NEXT) | instid1(VALU_DEP_3)
	v_or_b32_e32 v12, 0x1000, v6
	v_lshrrev_b32_e32 v13, v9, v11
	s_delay_alu instid0(VALU_DEP_2) | instskip(NEXT) | instid1(VALU_DEP_2)
	v_lshrrev_b32_e32 v14, v4, v12
	v_lshlrev_b32_e32 v9, v9, v13
	s_delay_alu instid0(VALU_DEP_2) | instskip(NEXT) | instid1(VALU_DEP_2)
	v_lshlrev_b32_e32 v4, v4, v14
	v_cmp_ne_u32_e32 vcc_lo, v9, v11
	v_lshl_or_b32 v11, v8, 12, v2
	s_wait_alu 0xfffd
	v_cndmask_b32_e64 v9, 0, 1, vcc_lo
	v_cmp_ne_u32_e32 vcc_lo, v4, v12
	v_lshl_or_b32 v12, v10, 12, v6
	s_delay_alu instid0(VALU_DEP_3) | instskip(SKIP_3) | instid1(VALU_DEP_2)
	v_or_b32_e32 v9, v13, v9
	s_wait_alu 0xfffd
	v_cndmask_b32_e64 v4, 0, 1, vcc_lo
	v_cmp_gt_i32_e32 vcc_lo, 1, v8
	v_or_b32_e32 v4, v14, v4
	s_wait_alu 0xfffd
	v_cndmask_b32_e32 v9, v11, v9, vcc_lo
	v_cmp_gt_i32_e32 vcc_lo, 1, v10
	s_wait_alu 0xfffd
	s_delay_alu instid0(VALU_DEP_2) | instskip(SKIP_2) | instid1(VALU_DEP_3)
	v_dual_cndmask_b32 v4, v12, v4 :: v_dual_and_b32 v11, 7, v9
	v_cmp_ne_u32_e32 vcc_lo, 0, v2
	v_lshrrev_b32_e32 v9, 2, v9
	v_cmp_eq_u32_e64 s0, 3, v11
	s_delay_alu instid0(VALU_DEP_4)
	v_and_b32_e32 v12, 7, v4
	s_wait_alu 0xfffd
	v_cndmask_b32_e64 v2, 0, 1, vcc_lo
	v_cmp_ne_u32_e32 vcc_lo, 0, v6
	v_lshrrev_b32_e32 v4, 2, v4
	v_cmp_lt_i32_e64 s1, 5, v12
	v_cmp_eq_u32_e64 s2, 3, v12
	s_wait_alu 0xfffd
	v_cndmask_b32_e64 v6, 0, 1, vcc_lo
	v_cmp_lt_i32_e32 vcc_lo, 5, v11
	v_lshl_or_b32 v2, v2, 9, 0x7c00
	s_delay_alu instid0(VALU_DEP_3)
	v_lshl_or_b32 v6, v6, 9, 0x7c00
	s_or_b32 vcc_lo, s0, vcc_lo
	s_wait_alu 0xfffe
	v_add_co_ci_u32_e32 v9, vcc_lo, 0, v9, vcc_lo
	s_or_b32 vcc_lo, s2, s1
	s_wait_alu 0xfffe
	v_add_co_ci_u32_e32 v4, vcc_lo, 0, v4, vcc_lo
	v_cmp_gt_i32_e32 vcc_lo, 31, v8
	s_wait_alu 0xfffd
	v_cndmask_b32_e32 v9, 0x7c00, v9, vcc_lo
	v_cmp_gt_i32_e32 vcc_lo, 31, v10
	s_wait_alu 0xfffd
	v_cndmask_b32_e32 v4, 0x7c00, v4, vcc_lo
	v_cmp_eq_u32_e32 vcc_lo, 0x40f, v8
	s_wait_alu 0xfffd
	v_cndmask_b32_e32 v2, v9, v2, vcc_lo
	v_cmp_eq_u32_e32 vcc_lo, 0x40f, v10
	s_delay_alu instid0(VALU_DEP_2)
	v_and_or_b32 v2, 0x8000, v5, v2
	s_wait_alu 0xfffd
	v_cndmask_b32_e32 v4, v4, v6, vcc_lo
	v_add_co_u32 v0, vcc_lo, v0, s4
	s_wait_alu 0xfffd
	v_add_co_ci_u32_e32 v1, vcc_lo, s5, v1, vcc_lo
	s_delay_alu instid0(VALU_DEP_3) | instskip(SKIP_1) | instid1(VALU_DEP_1)
	v_and_or_b32 v4, 0x8000, v7, v4
	v_and_b32_e32 v2, 0xffff, v2
	v_lshl_or_b32 v2, v4, 16, v2
	v_lshrrev_b32_e32 v4, 16, v3
	global_store_b32 v[0:1], v2, off
	global_load_b32 v2, v41, s[12:13] offset:1728
	s_wait_loadcnt 0x0
	v_lshrrev_b32_e32 v5, 16, v2
	s_delay_alu instid0(VALU_DEP_1) | instskip(SKIP_1) | instid1(VALU_DEP_2)
	v_mul_f16_e32 v6, v4, v5
	v_mul_f16_e32 v5, v3, v5
	v_fmac_f16_e32 v6, v3, v2
	s_delay_alu instid0(VALU_DEP_2) | instskip(NEXT) | instid1(VALU_DEP_2)
	v_fma_f16 v2, v2, v4, -v5
	v_cvt_f32_f16_e32 v3, v6
	s_delay_alu instid0(VALU_DEP_2) | instskip(NEXT) | instid1(VALU_DEP_2)
	v_cvt_f32_f16_e32 v4, v2
	v_cvt_f64_f32_e32 v[2:3], v3
	s_delay_alu instid0(VALU_DEP_2) | instskip(NEXT) | instid1(VALU_DEP_2)
	v_cvt_f64_f32_e32 v[4:5], v4
	v_mul_f64_e32 v[2:3], s[8:9], v[2:3]
	s_delay_alu instid0(VALU_DEP_2) | instskip(NEXT) | instid1(VALU_DEP_2)
	v_mul_f64_e32 v[4:5], s[8:9], v[4:5]
	v_and_or_b32 v2, 0x1ff, v3, v2
	s_delay_alu instid0(VALU_DEP_2)
	v_and_or_b32 v4, 0x1ff, v5, v4
	v_lshrrev_b32_e32 v6, 8, v3
	v_bfe_u32 v7, v3, 20, 11
	v_lshrrev_b32_e32 v8, 8, v5
	v_cmp_ne_u32_e32 vcc_lo, 0, v2
	v_bfe_u32 v9, v5, 20, 11
	v_lshrrev_b32_e32 v3, 16, v3
	v_sub_nc_u32_e32 v10, 0x3f1, v7
	v_add_nc_u32_e32 v7, 0xfffffc10, v7
	s_wait_alu 0xfffd
	v_cndmask_b32_e64 v2, 0, 1, vcc_lo
	v_cmp_ne_u32_e32 vcc_lo, 0, v4
	v_lshrrev_b32_e32 v5, 16, v5
	s_delay_alu instid0(VALU_DEP_3) | instskip(SKIP_4) | instid1(VALU_DEP_3)
	v_and_or_b32 v2, 0xffe, v6, v2
	s_wait_alu 0xfffd
	v_cndmask_b32_e64 v4, 0, 1, vcc_lo
	v_sub_nc_u32_e32 v6, 0x3f1, v9
	v_add_nc_u32_e32 v9, 0xfffffc10, v9
	v_and_or_b32 v4, 0xffe, v8, v4
	v_med3_i32 v8, v10, 0, 13
	v_or_b32_e32 v10, 0x1000, v2
	v_med3_i32 v6, v6, 0, 13
	s_delay_alu instid0(VALU_DEP_4) | instskip(NEXT) | instid1(VALU_DEP_3)
	v_or_b32_e32 v11, 0x1000, v4
	v_lshrrev_b32_e32 v12, v8, v10
	s_delay_alu instid0(VALU_DEP_2) | instskip(NEXT) | instid1(VALU_DEP_2)
	v_lshrrev_b32_e32 v13, v6, v11
	v_lshlrev_b32_e32 v8, v8, v12
	s_delay_alu instid0(VALU_DEP_2) | instskip(NEXT) | instid1(VALU_DEP_2)
	v_lshlrev_b32_e32 v6, v6, v13
	v_cmp_ne_u32_e32 vcc_lo, v8, v10
	v_lshl_or_b32 v10, v7, 12, v2
	s_wait_alu 0xfffd
	v_cndmask_b32_e64 v8, 0, 1, vcc_lo
	v_cmp_ne_u32_e32 vcc_lo, v6, v11
	v_lshl_or_b32 v11, v9, 12, v4
	s_delay_alu instid0(VALU_DEP_3) | instskip(SKIP_3) | instid1(VALU_DEP_2)
	v_or_b32_e32 v8, v12, v8
	s_wait_alu 0xfffd
	v_cndmask_b32_e64 v6, 0, 1, vcc_lo
	v_cmp_gt_i32_e32 vcc_lo, 1, v7
	v_or_b32_e32 v6, v13, v6
	s_wait_alu 0xfffd
	v_cndmask_b32_e32 v8, v10, v8, vcc_lo
	v_cmp_gt_i32_e32 vcc_lo, 1, v9
	s_delay_alu instid0(VALU_DEP_2)
	v_and_b32_e32 v10, 7, v8
	s_wait_alu 0xfffd
	v_cndmask_b32_e32 v6, v11, v6, vcc_lo
	v_cmp_ne_u32_e32 vcc_lo, 0, v2
	v_lshrrev_b32_e32 v8, 2, v8
	v_cmp_eq_u32_e64 s0, 3, v10
	s_delay_alu instid0(VALU_DEP_4)
	v_and_b32_e32 v11, 7, v6
	s_wait_alu 0xfffd
	v_cndmask_b32_e64 v2, 0, 1, vcc_lo
	v_cmp_ne_u32_e32 vcc_lo, 0, v4
	v_lshrrev_b32_e32 v6, 2, v6
	v_cmp_lt_i32_e64 s1, 5, v11
	v_cmp_eq_u32_e64 s2, 3, v11
	s_wait_alu 0xfffd
	v_cndmask_b32_e64 v4, 0, 1, vcc_lo
	v_cmp_lt_i32_e32 vcc_lo, 5, v10
	v_lshl_or_b32 v2, v2, 9, 0x7c00
	s_delay_alu instid0(VALU_DEP_3)
	v_lshl_or_b32 v4, v4, 9, 0x7c00
	s_or_b32 vcc_lo, s0, vcc_lo
	s_wait_alu 0xfffe
	v_add_co_ci_u32_e32 v8, vcc_lo, 0, v8, vcc_lo
	s_or_b32 vcc_lo, s2, s1
	s_wait_alu 0xfffe
	v_add_co_ci_u32_e32 v6, vcc_lo, 0, v6, vcc_lo
	v_cmp_gt_i32_e32 vcc_lo, 31, v7
	s_wait_alu 0xfffd
	v_cndmask_b32_e32 v8, 0x7c00, v8, vcc_lo
	v_cmp_gt_i32_e32 vcc_lo, 31, v9
	s_wait_alu 0xfffd
	v_cndmask_b32_e32 v6, 0x7c00, v6, vcc_lo
	v_cmp_eq_u32_e32 vcc_lo, 0x40f, v7
	s_wait_alu 0xfffd
	v_cndmask_b32_e32 v2, v8, v2, vcc_lo
	v_cmp_eq_u32_e32 vcc_lo, 0x40f, v9
	s_delay_alu instid0(VALU_DEP_2)
	v_and_or_b32 v2, 0x8000, v3, v2
	s_wait_alu 0xfffd
	v_cndmask_b32_e32 v4, v6, v4, vcc_lo
	v_add_co_u32 v0, vcc_lo, v0, s4
	s_wait_alu 0xfffd
	v_add_co_ci_u32_e32 v1, vcc_lo, s5, v1, vcc_lo
	s_delay_alu instid0(VALU_DEP_3) | instskip(SKIP_1) | instid1(VALU_DEP_1)
	v_and_or_b32 v3, 0x8000, v5, v4
	v_and_b32_e32 v2, 0xffff, v2
	v_lshl_or_b32 v2, v3, 16, v2
	global_store_b32 v[0:1], v2, off
	global_load_b32 v4, v41, s[12:13] offset:2160
	v_add_nc_u32_e32 v2, 0x800, v43
	ds_load_2addr_b32 v[2:3], v2 offset0:28 offset1:136
	s_wait_dscnt 0x0
	v_lshrrev_b32_e32 v5, 16, v2
	s_wait_loadcnt 0x0
	v_lshrrev_b32_e32 v6, 16, v4
	s_delay_alu instid0(VALU_DEP_1) | instskip(SKIP_1) | instid1(VALU_DEP_2)
	v_mul_f16_e32 v7, v5, v6
	v_mul_f16_e32 v6, v2, v6
	v_fmac_f16_e32 v7, v2, v4
	s_delay_alu instid0(VALU_DEP_2) | instskip(NEXT) | instid1(VALU_DEP_2)
	v_fma_f16 v2, v4, v5, -v6
	v_cvt_f32_f16_e32 v4, v7
	s_delay_alu instid0(VALU_DEP_2) | instskip(NEXT) | instid1(VALU_DEP_2)
	v_cvt_f32_f16_e32 v2, v2
	v_cvt_f64_f32_e32 v[4:5], v4
	s_delay_alu instid0(VALU_DEP_2) | instskip(NEXT) | instid1(VALU_DEP_2)
	v_cvt_f64_f32_e32 v[6:7], v2
	v_mul_f64_e32 v[4:5], s[8:9], v[4:5]
	s_delay_alu instid0(VALU_DEP_2) | instskip(NEXT) | instid1(VALU_DEP_2)
	v_mul_f64_e32 v[6:7], s[8:9], v[6:7]
	v_and_or_b32 v2, 0x1ff, v5, v4
	s_delay_alu instid0(VALU_DEP_2)
	v_and_or_b32 v6, 0x1ff, v7, v6
	v_lshrrev_b32_e32 v4, 8, v5
	v_bfe_u32 v8, v5, 20, 11
	v_lshrrev_b32_e32 v9, 8, v7
	v_cmp_ne_u32_e32 vcc_lo, 0, v2
	v_bfe_u32 v10, v7, 20, 11
	v_lshrrev_b32_e32 v5, 16, v5
	v_sub_nc_u32_e32 v11, 0x3f1, v8
	v_add_nc_u32_e32 v8, 0xfffffc10, v8
	s_wait_alu 0xfffd
	v_cndmask_b32_e64 v2, 0, 1, vcc_lo
	v_cmp_ne_u32_e32 vcc_lo, 0, v6
	v_lshrrev_b32_e32 v7, 16, v7
	s_delay_alu instid0(VALU_DEP_3) | instskip(SKIP_4) | instid1(VALU_DEP_3)
	v_and_or_b32 v2, 0xffe, v4, v2
	s_wait_alu 0xfffd
	v_cndmask_b32_e64 v6, 0, 1, vcc_lo
	v_sub_nc_u32_e32 v4, 0x3f1, v10
	v_add_nc_u32_e32 v10, 0xfffffc10, v10
	v_and_or_b32 v6, 0xffe, v9, v6
	v_med3_i32 v9, v11, 0, 13
	v_or_b32_e32 v11, 0x1000, v2
	v_med3_i32 v4, v4, 0, 13
	s_delay_alu instid0(VALU_DEP_4) | instskip(NEXT) | instid1(VALU_DEP_3)
	v_or_b32_e32 v12, 0x1000, v6
	v_lshrrev_b32_e32 v13, v9, v11
	s_delay_alu instid0(VALU_DEP_2) | instskip(NEXT) | instid1(VALU_DEP_2)
	v_lshrrev_b32_e32 v14, v4, v12
	v_lshlrev_b32_e32 v9, v9, v13
	s_delay_alu instid0(VALU_DEP_2) | instskip(NEXT) | instid1(VALU_DEP_2)
	v_lshlrev_b32_e32 v4, v4, v14
	v_cmp_ne_u32_e32 vcc_lo, v9, v11
	v_lshl_or_b32 v11, v8, 12, v2
	s_wait_alu 0xfffd
	v_cndmask_b32_e64 v9, 0, 1, vcc_lo
	v_cmp_ne_u32_e32 vcc_lo, v4, v12
	v_lshl_or_b32 v12, v10, 12, v6
	s_delay_alu instid0(VALU_DEP_3) | instskip(SKIP_3) | instid1(VALU_DEP_2)
	v_or_b32_e32 v9, v13, v9
	s_wait_alu 0xfffd
	v_cndmask_b32_e64 v4, 0, 1, vcc_lo
	v_cmp_gt_i32_e32 vcc_lo, 1, v8
	v_or_b32_e32 v4, v14, v4
	s_wait_alu 0xfffd
	v_cndmask_b32_e32 v9, v11, v9, vcc_lo
	v_cmp_gt_i32_e32 vcc_lo, 1, v10
	s_wait_alu 0xfffd
	s_delay_alu instid0(VALU_DEP_2) | instskip(SKIP_2) | instid1(VALU_DEP_3)
	v_dual_cndmask_b32 v4, v12, v4 :: v_dual_and_b32 v11, 7, v9
	v_cmp_ne_u32_e32 vcc_lo, 0, v2
	v_lshrrev_b32_e32 v9, 2, v9
	v_cmp_eq_u32_e64 s0, 3, v11
	s_delay_alu instid0(VALU_DEP_4)
	v_and_b32_e32 v12, 7, v4
	s_wait_alu 0xfffd
	v_cndmask_b32_e64 v2, 0, 1, vcc_lo
	v_cmp_ne_u32_e32 vcc_lo, 0, v6
	v_lshrrev_b32_e32 v4, 2, v4
	v_cmp_lt_i32_e64 s1, 5, v12
	v_cmp_eq_u32_e64 s2, 3, v12
	s_wait_alu 0xfffd
	v_cndmask_b32_e64 v6, 0, 1, vcc_lo
	v_cmp_lt_i32_e32 vcc_lo, 5, v11
	v_lshl_or_b32 v2, v2, 9, 0x7c00
	s_delay_alu instid0(VALU_DEP_3)
	v_lshl_or_b32 v6, v6, 9, 0x7c00
	s_or_b32 vcc_lo, s0, vcc_lo
	s_wait_alu 0xfffe
	v_add_co_ci_u32_e32 v9, vcc_lo, 0, v9, vcc_lo
	s_or_b32 vcc_lo, s2, s1
	s_wait_alu 0xfffe
	v_add_co_ci_u32_e32 v4, vcc_lo, 0, v4, vcc_lo
	v_cmp_gt_i32_e32 vcc_lo, 31, v8
	s_wait_alu 0xfffd
	v_cndmask_b32_e32 v9, 0x7c00, v9, vcc_lo
	v_cmp_gt_i32_e32 vcc_lo, 31, v10
	s_wait_alu 0xfffd
	v_cndmask_b32_e32 v4, 0x7c00, v4, vcc_lo
	v_cmp_eq_u32_e32 vcc_lo, 0x40f, v8
	s_wait_alu 0xfffd
	v_cndmask_b32_e32 v2, v9, v2, vcc_lo
	v_cmp_eq_u32_e32 vcc_lo, 0x40f, v10
	s_delay_alu instid0(VALU_DEP_2)
	v_and_or_b32 v2, 0x8000, v5, v2
	s_wait_alu 0xfffd
	v_cndmask_b32_e32 v4, v4, v6, vcc_lo
	v_add_co_u32 v0, vcc_lo, v0, s4
	s_wait_alu 0xfffd
	v_add_co_ci_u32_e32 v1, vcc_lo, s5, v1, vcc_lo
	s_delay_alu instid0(VALU_DEP_3) | instskip(SKIP_1) | instid1(VALU_DEP_1)
	v_and_or_b32 v4, 0x8000, v7, v4
	v_and_b32_e32 v2, 0xffff, v2
	v_lshl_or_b32 v2, v4, 16, v2
	v_lshrrev_b32_e32 v4, 16, v3
	global_store_b32 v[0:1], v2, off
	global_load_b32 v2, v41, s[12:13] offset:2592
	s_wait_loadcnt 0x0
	v_lshrrev_b32_e32 v5, 16, v2
	s_delay_alu instid0(VALU_DEP_1) | instskip(SKIP_1) | instid1(VALU_DEP_2)
	v_mul_f16_e32 v6, v4, v5
	v_mul_f16_e32 v5, v3, v5
	v_fmac_f16_e32 v6, v3, v2
	s_delay_alu instid0(VALU_DEP_2) | instskip(NEXT) | instid1(VALU_DEP_2)
	v_fma_f16 v2, v2, v4, -v5
	v_cvt_f32_f16_e32 v3, v6
	s_delay_alu instid0(VALU_DEP_2) | instskip(NEXT) | instid1(VALU_DEP_2)
	v_cvt_f32_f16_e32 v4, v2
	v_cvt_f64_f32_e32 v[2:3], v3
	s_delay_alu instid0(VALU_DEP_2) | instskip(NEXT) | instid1(VALU_DEP_2)
	v_cvt_f64_f32_e32 v[4:5], v4
	v_mul_f64_e32 v[2:3], s[8:9], v[2:3]
	s_delay_alu instid0(VALU_DEP_2) | instskip(NEXT) | instid1(VALU_DEP_2)
	v_mul_f64_e32 v[4:5], s[8:9], v[4:5]
	v_and_or_b32 v2, 0x1ff, v3, v2
	s_delay_alu instid0(VALU_DEP_2)
	v_and_or_b32 v4, 0x1ff, v5, v4
	v_lshrrev_b32_e32 v6, 8, v3
	v_bfe_u32 v7, v3, 20, 11
	v_lshrrev_b32_e32 v8, 8, v5
	v_cmp_ne_u32_e32 vcc_lo, 0, v2
	v_bfe_u32 v9, v5, 20, 11
	v_lshrrev_b32_e32 v3, 16, v3
	v_sub_nc_u32_e32 v10, 0x3f1, v7
	v_add_nc_u32_e32 v7, 0xfffffc10, v7
	s_wait_alu 0xfffd
	v_cndmask_b32_e64 v2, 0, 1, vcc_lo
	v_cmp_ne_u32_e32 vcc_lo, 0, v4
	v_lshrrev_b32_e32 v5, 16, v5
	s_delay_alu instid0(VALU_DEP_3) | instskip(SKIP_4) | instid1(VALU_DEP_3)
	v_and_or_b32 v2, 0xffe, v6, v2
	s_wait_alu 0xfffd
	v_cndmask_b32_e64 v4, 0, 1, vcc_lo
	v_sub_nc_u32_e32 v6, 0x3f1, v9
	v_add_nc_u32_e32 v9, 0xfffffc10, v9
	v_and_or_b32 v4, 0xffe, v8, v4
	v_med3_i32 v8, v10, 0, 13
	v_or_b32_e32 v10, 0x1000, v2
	v_med3_i32 v6, v6, 0, 13
	s_delay_alu instid0(VALU_DEP_4) | instskip(NEXT) | instid1(VALU_DEP_3)
	v_or_b32_e32 v11, 0x1000, v4
	v_lshrrev_b32_e32 v12, v8, v10
	s_delay_alu instid0(VALU_DEP_2) | instskip(NEXT) | instid1(VALU_DEP_2)
	v_lshrrev_b32_e32 v13, v6, v11
	v_lshlrev_b32_e32 v8, v8, v12
	s_delay_alu instid0(VALU_DEP_2) | instskip(NEXT) | instid1(VALU_DEP_2)
	v_lshlrev_b32_e32 v6, v6, v13
	v_cmp_ne_u32_e32 vcc_lo, v8, v10
	v_lshl_or_b32 v10, v7, 12, v2
	s_wait_alu 0xfffd
	v_cndmask_b32_e64 v8, 0, 1, vcc_lo
	v_cmp_ne_u32_e32 vcc_lo, v6, v11
	v_lshl_or_b32 v11, v9, 12, v4
	s_delay_alu instid0(VALU_DEP_3) | instskip(SKIP_3) | instid1(VALU_DEP_2)
	v_or_b32_e32 v8, v12, v8
	s_wait_alu 0xfffd
	v_cndmask_b32_e64 v6, 0, 1, vcc_lo
	v_cmp_gt_i32_e32 vcc_lo, 1, v7
	v_or_b32_e32 v6, v13, v6
	s_wait_alu 0xfffd
	v_cndmask_b32_e32 v8, v10, v8, vcc_lo
	v_cmp_gt_i32_e32 vcc_lo, 1, v9
	s_delay_alu instid0(VALU_DEP_2)
	v_and_b32_e32 v10, 7, v8
	s_wait_alu 0xfffd
	v_cndmask_b32_e32 v6, v11, v6, vcc_lo
	v_cmp_ne_u32_e32 vcc_lo, 0, v2
	v_lshrrev_b32_e32 v8, 2, v8
	v_cmp_eq_u32_e64 s0, 3, v10
	s_delay_alu instid0(VALU_DEP_4)
	v_and_b32_e32 v11, 7, v6
	s_wait_alu 0xfffd
	v_cndmask_b32_e64 v2, 0, 1, vcc_lo
	v_cmp_ne_u32_e32 vcc_lo, 0, v4
	v_lshrrev_b32_e32 v6, 2, v6
	v_cmp_lt_i32_e64 s1, 5, v11
	v_cmp_eq_u32_e64 s2, 3, v11
	s_wait_alu 0xfffd
	v_cndmask_b32_e64 v4, 0, 1, vcc_lo
	v_cmp_lt_i32_e32 vcc_lo, 5, v10
	v_lshl_or_b32 v2, v2, 9, 0x7c00
	s_delay_alu instid0(VALU_DEP_3)
	v_lshl_or_b32 v4, v4, 9, 0x7c00
	s_or_b32 vcc_lo, s0, vcc_lo
	s_wait_alu 0xfffe
	v_add_co_ci_u32_e32 v8, vcc_lo, 0, v8, vcc_lo
	s_or_b32 vcc_lo, s2, s1
	s_wait_alu 0xfffe
	v_add_co_ci_u32_e32 v6, vcc_lo, 0, v6, vcc_lo
	v_cmp_gt_i32_e32 vcc_lo, 31, v7
	s_wait_alu 0xfffd
	v_cndmask_b32_e32 v8, 0x7c00, v8, vcc_lo
	v_cmp_gt_i32_e32 vcc_lo, 31, v9
	s_wait_alu 0xfffd
	v_cndmask_b32_e32 v6, 0x7c00, v6, vcc_lo
	v_cmp_eq_u32_e32 vcc_lo, 0x40f, v7
	s_wait_alu 0xfffd
	v_cndmask_b32_e32 v2, v8, v2, vcc_lo
	v_cmp_eq_u32_e32 vcc_lo, 0x40f, v9
	s_delay_alu instid0(VALU_DEP_2)
	v_and_or_b32 v2, 0x8000, v3, v2
	s_wait_alu 0xfffd
	v_cndmask_b32_e32 v4, v6, v4, vcc_lo
	v_add_co_u32 v0, vcc_lo, v0, s4
	s_wait_alu 0xfffd
	v_add_co_ci_u32_e32 v1, vcc_lo, s5, v1, vcc_lo
	s_delay_alu instid0(VALU_DEP_3) | instskip(SKIP_1) | instid1(VALU_DEP_1)
	v_and_or_b32 v3, 0x8000, v5, v4
	v_and_b32_e32 v2, 0xffff, v2
	v_lshl_or_b32 v2, v3, 16, v2
	global_store_b32 v[0:1], v2, off
	global_load_b32 v4, v41, s[12:13] offset:3024
	v_add_nc_u32_e32 v2, 0xa00, v43
	ds_load_2addr_b32 v[2:3], v2 offset0:116 offset1:224
	s_wait_dscnt 0x0
	v_lshrrev_b32_e32 v5, 16, v2
	s_wait_loadcnt 0x0
	v_lshrrev_b32_e32 v6, 16, v4
	s_delay_alu instid0(VALU_DEP_1) | instskip(SKIP_1) | instid1(VALU_DEP_2)
	v_mul_f16_e32 v7, v5, v6
	v_mul_f16_e32 v6, v2, v6
	v_fmac_f16_e32 v7, v2, v4
	s_delay_alu instid0(VALU_DEP_2) | instskip(NEXT) | instid1(VALU_DEP_2)
	v_fma_f16 v2, v4, v5, -v6
	v_cvt_f32_f16_e32 v4, v7
	s_delay_alu instid0(VALU_DEP_2) | instskip(NEXT) | instid1(VALU_DEP_2)
	v_cvt_f32_f16_e32 v2, v2
	v_cvt_f64_f32_e32 v[4:5], v4
	s_delay_alu instid0(VALU_DEP_2) | instskip(NEXT) | instid1(VALU_DEP_2)
	v_cvt_f64_f32_e32 v[6:7], v2
	v_mul_f64_e32 v[4:5], s[8:9], v[4:5]
	s_delay_alu instid0(VALU_DEP_2) | instskip(NEXT) | instid1(VALU_DEP_2)
	v_mul_f64_e32 v[6:7], s[8:9], v[6:7]
	v_and_or_b32 v2, 0x1ff, v5, v4
	s_delay_alu instid0(VALU_DEP_2)
	v_and_or_b32 v6, 0x1ff, v7, v6
	v_lshrrev_b32_e32 v4, 8, v5
	v_bfe_u32 v8, v5, 20, 11
	v_lshrrev_b32_e32 v9, 8, v7
	v_cmp_ne_u32_e32 vcc_lo, 0, v2
	v_bfe_u32 v10, v7, 20, 11
	v_lshrrev_b32_e32 v5, 16, v5
	v_sub_nc_u32_e32 v11, 0x3f1, v8
	v_add_nc_u32_e32 v8, 0xfffffc10, v8
	s_wait_alu 0xfffd
	v_cndmask_b32_e64 v2, 0, 1, vcc_lo
	v_cmp_ne_u32_e32 vcc_lo, 0, v6
	v_lshrrev_b32_e32 v7, 16, v7
	s_delay_alu instid0(VALU_DEP_3) | instskip(SKIP_4) | instid1(VALU_DEP_3)
	v_and_or_b32 v2, 0xffe, v4, v2
	s_wait_alu 0xfffd
	v_cndmask_b32_e64 v6, 0, 1, vcc_lo
	v_sub_nc_u32_e32 v4, 0x3f1, v10
	v_add_nc_u32_e32 v10, 0xfffffc10, v10
	v_and_or_b32 v6, 0xffe, v9, v6
	v_med3_i32 v9, v11, 0, 13
	v_or_b32_e32 v11, 0x1000, v2
	v_med3_i32 v4, v4, 0, 13
	s_delay_alu instid0(VALU_DEP_4) | instskip(NEXT) | instid1(VALU_DEP_3)
	v_or_b32_e32 v12, 0x1000, v6
	v_lshrrev_b32_e32 v13, v9, v11
	s_delay_alu instid0(VALU_DEP_2) | instskip(NEXT) | instid1(VALU_DEP_2)
	v_lshrrev_b32_e32 v14, v4, v12
	v_lshlrev_b32_e32 v9, v9, v13
	s_delay_alu instid0(VALU_DEP_2) | instskip(NEXT) | instid1(VALU_DEP_2)
	v_lshlrev_b32_e32 v4, v4, v14
	v_cmp_ne_u32_e32 vcc_lo, v9, v11
	v_lshl_or_b32 v11, v8, 12, v2
	s_wait_alu 0xfffd
	v_cndmask_b32_e64 v9, 0, 1, vcc_lo
	v_cmp_ne_u32_e32 vcc_lo, v4, v12
	v_lshl_or_b32 v12, v10, 12, v6
	s_delay_alu instid0(VALU_DEP_3) | instskip(SKIP_3) | instid1(VALU_DEP_2)
	v_or_b32_e32 v9, v13, v9
	s_wait_alu 0xfffd
	v_cndmask_b32_e64 v4, 0, 1, vcc_lo
	v_cmp_gt_i32_e32 vcc_lo, 1, v8
	v_or_b32_e32 v4, v14, v4
	s_wait_alu 0xfffd
	v_cndmask_b32_e32 v9, v11, v9, vcc_lo
	v_cmp_gt_i32_e32 vcc_lo, 1, v10
	s_wait_alu 0xfffd
	s_delay_alu instid0(VALU_DEP_2) | instskip(SKIP_2) | instid1(VALU_DEP_3)
	v_dual_cndmask_b32 v4, v12, v4 :: v_dual_and_b32 v11, 7, v9
	v_cmp_ne_u32_e32 vcc_lo, 0, v2
	v_lshrrev_b32_e32 v9, 2, v9
	v_cmp_eq_u32_e64 s0, 3, v11
	s_delay_alu instid0(VALU_DEP_4)
	v_and_b32_e32 v12, 7, v4
	s_wait_alu 0xfffd
	v_cndmask_b32_e64 v2, 0, 1, vcc_lo
	v_cmp_ne_u32_e32 vcc_lo, 0, v6
	v_lshrrev_b32_e32 v4, 2, v4
	v_cmp_lt_i32_e64 s1, 5, v12
	v_cmp_eq_u32_e64 s2, 3, v12
	s_wait_alu 0xfffd
	v_cndmask_b32_e64 v6, 0, 1, vcc_lo
	v_cmp_lt_i32_e32 vcc_lo, 5, v11
	v_lshl_or_b32 v2, v2, 9, 0x7c00
	s_delay_alu instid0(VALU_DEP_3)
	v_lshl_or_b32 v6, v6, 9, 0x7c00
	s_or_b32 vcc_lo, s0, vcc_lo
	s_wait_alu 0xfffe
	v_add_co_ci_u32_e32 v9, vcc_lo, 0, v9, vcc_lo
	s_or_b32 vcc_lo, s2, s1
	s_wait_alu 0xfffe
	v_add_co_ci_u32_e32 v4, vcc_lo, 0, v4, vcc_lo
	v_cmp_gt_i32_e32 vcc_lo, 31, v8
	s_wait_alu 0xfffd
	v_cndmask_b32_e32 v9, 0x7c00, v9, vcc_lo
	v_cmp_gt_i32_e32 vcc_lo, 31, v10
	s_wait_alu 0xfffd
	v_cndmask_b32_e32 v4, 0x7c00, v4, vcc_lo
	v_cmp_eq_u32_e32 vcc_lo, 0x40f, v8
	s_wait_alu 0xfffd
	v_cndmask_b32_e32 v2, v9, v2, vcc_lo
	v_cmp_eq_u32_e32 vcc_lo, 0x40f, v10
	s_delay_alu instid0(VALU_DEP_2)
	v_and_or_b32 v2, 0x8000, v5, v2
	s_wait_alu 0xfffd
	v_cndmask_b32_e32 v4, v4, v6, vcc_lo
	v_add_co_u32 v0, vcc_lo, v0, s4
	s_wait_alu 0xfffd
	v_add_co_ci_u32_e32 v1, vcc_lo, s5, v1, vcc_lo
	s_delay_alu instid0(VALU_DEP_3) | instskip(SKIP_1) | instid1(VALU_DEP_1)
	v_and_or_b32 v4, 0x8000, v7, v4
	v_and_b32_e32 v2, 0xffff, v2
	v_lshl_or_b32 v2, v4, 16, v2
	v_lshrrev_b32_e32 v4, 16, v3
	global_store_b32 v[0:1], v2, off
	global_load_b32 v2, v41, s[12:13] offset:3456
	s_wait_loadcnt 0x0
	v_lshrrev_b32_e32 v5, 16, v2
	s_delay_alu instid0(VALU_DEP_1) | instskip(SKIP_1) | instid1(VALU_DEP_2)
	v_mul_f16_e32 v6, v4, v5
	v_mul_f16_e32 v5, v3, v5
	v_fmac_f16_e32 v6, v3, v2
	s_delay_alu instid0(VALU_DEP_2) | instskip(NEXT) | instid1(VALU_DEP_2)
	v_fma_f16 v2, v2, v4, -v5
	v_cvt_f32_f16_e32 v3, v6
	s_delay_alu instid0(VALU_DEP_2) | instskip(NEXT) | instid1(VALU_DEP_2)
	v_cvt_f32_f16_e32 v4, v2
	v_cvt_f64_f32_e32 v[2:3], v3
	s_delay_alu instid0(VALU_DEP_2) | instskip(NEXT) | instid1(VALU_DEP_2)
	v_cvt_f64_f32_e32 v[4:5], v4
	v_mul_f64_e32 v[2:3], s[8:9], v[2:3]
	s_delay_alu instid0(VALU_DEP_2) | instskip(NEXT) | instid1(VALU_DEP_2)
	v_mul_f64_e32 v[4:5], s[8:9], v[4:5]
	v_and_or_b32 v2, 0x1ff, v3, v2
	s_delay_alu instid0(VALU_DEP_2)
	v_and_or_b32 v4, 0x1ff, v5, v4
	v_lshrrev_b32_e32 v6, 8, v3
	v_bfe_u32 v7, v3, 20, 11
	v_lshrrev_b32_e32 v8, 8, v5
	v_cmp_ne_u32_e32 vcc_lo, 0, v2
	v_bfe_u32 v9, v5, 20, 11
	v_lshrrev_b32_e32 v3, 16, v3
	v_sub_nc_u32_e32 v10, 0x3f1, v7
	v_add_nc_u32_e32 v7, 0xfffffc10, v7
	s_wait_alu 0xfffd
	v_cndmask_b32_e64 v2, 0, 1, vcc_lo
	v_cmp_ne_u32_e32 vcc_lo, 0, v4
	v_lshrrev_b32_e32 v5, 16, v5
	s_delay_alu instid0(VALU_DEP_3) | instskip(SKIP_4) | instid1(VALU_DEP_3)
	v_and_or_b32 v2, 0xffe, v6, v2
	s_wait_alu 0xfffd
	v_cndmask_b32_e64 v4, 0, 1, vcc_lo
	v_sub_nc_u32_e32 v6, 0x3f1, v9
	v_add_nc_u32_e32 v9, 0xfffffc10, v9
	v_and_or_b32 v4, 0xffe, v8, v4
	v_med3_i32 v8, v10, 0, 13
	v_or_b32_e32 v10, 0x1000, v2
	v_med3_i32 v6, v6, 0, 13
	s_delay_alu instid0(VALU_DEP_4) | instskip(NEXT) | instid1(VALU_DEP_3)
	v_or_b32_e32 v11, 0x1000, v4
	v_lshrrev_b32_e32 v12, v8, v10
	s_delay_alu instid0(VALU_DEP_2) | instskip(NEXT) | instid1(VALU_DEP_2)
	v_lshrrev_b32_e32 v13, v6, v11
	v_lshlrev_b32_e32 v8, v8, v12
	s_delay_alu instid0(VALU_DEP_2) | instskip(NEXT) | instid1(VALU_DEP_2)
	v_lshlrev_b32_e32 v6, v6, v13
	v_cmp_ne_u32_e32 vcc_lo, v8, v10
	v_lshl_or_b32 v10, v7, 12, v2
	s_wait_alu 0xfffd
	v_cndmask_b32_e64 v8, 0, 1, vcc_lo
	v_cmp_ne_u32_e32 vcc_lo, v6, v11
	v_lshl_or_b32 v11, v9, 12, v4
	s_delay_alu instid0(VALU_DEP_3) | instskip(SKIP_3) | instid1(VALU_DEP_2)
	v_or_b32_e32 v8, v12, v8
	s_wait_alu 0xfffd
	v_cndmask_b32_e64 v6, 0, 1, vcc_lo
	v_cmp_gt_i32_e32 vcc_lo, 1, v7
	v_or_b32_e32 v6, v13, v6
	s_wait_alu 0xfffd
	v_cndmask_b32_e32 v8, v10, v8, vcc_lo
	v_cmp_gt_i32_e32 vcc_lo, 1, v9
	s_delay_alu instid0(VALU_DEP_2)
	v_and_b32_e32 v10, 7, v8
	s_wait_alu 0xfffd
	v_cndmask_b32_e32 v6, v11, v6, vcc_lo
	v_cmp_ne_u32_e32 vcc_lo, 0, v2
	v_lshrrev_b32_e32 v8, 2, v8
	v_cmp_eq_u32_e64 s0, 3, v10
	s_delay_alu instid0(VALU_DEP_4)
	v_and_b32_e32 v11, 7, v6
	s_wait_alu 0xfffd
	v_cndmask_b32_e64 v2, 0, 1, vcc_lo
	v_cmp_ne_u32_e32 vcc_lo, 0, v4
	v_lshrrev_b32_e32 v6, 2, v6
	v_cmp_lt_i32_e64 s1, 5, v11
	v_cmp_eq_u32_e64 s2, 3, v11
	s_wait_alu 0xfffd
	v_cndmask_b32_e64 v4, 0, 1, vcc_lo
	v_cmp_lt_i32_e32 vcc_lo, 5, v10
	v_lshl_or_b32 v2, v2, 9, 0x7c00
	s_delay_alu instid0(VALU_DEP_3)
	v_lshl_or_b32 v4, v4, 9, 0x7c00
	s_or_b32 vcc_lo, s0, vcc_lo
	s_wait_alu 0xfffe
	v_add_co_ci_u32_e32 v8, vcc_lo, 0, v8, vcc_lo
	s_or_b32 vcc_lo, s2, s1
	s_wait_alu 0xfffe
	v_add_co_ci_u32_e32 v6, vcc_lo, 0, v6, vcc_lo
	v_cmp_gt_i32_e32 vcc_lo, 31, v7
	s_wait_alu 0xfffd
	v_cndmask_b32_e32 v8, 0x7c00, v8, vcc_lo
	v_cmp_gt_i32_e32 vcc_lo, 31, v9
	s_wait_alu 0xfffd
	v_cndmask_b32_e32 v6, 0x7c00, v6, vcc_lo
	v_cmp_eq_u32_e32 vcc_lo, 0x40f, v7
	s_wait_alu 0xfffd
	v_cndmask_b32_e32 v2, v8, v2, vcc_lo
	v_cmp_eq_u32_e32 vcc_lo, 0x40f, v9
	s_delay_alu instid0(VALU_DEP_2)
	v_and_or_b32 v2, 0x8000, v3, v2
	s_wait_alu 0xfffd
	v_cndmask_b32_e32 v4, v6, v4, vcc_lo
	v_add_co_u32 v0, vcc_lo, v0, s4
	s_wait_alu 0xfffd
	v_add_co_ci_u32_e32 v1, vcc_lo, s5, v1, vcc_lo
	s_delay_alu instid0(VALU_DEP_3) | instskip(SKIP_1) | instid1(VALU_DEP_1)
	v_and_or_b32 v3, 0x8000, v5, v4
	v_and_b32_e32 v2, 0xffff, v2
	v_lshl_or_b32 v2, v3, 16, v2
	global_store_b32 v[0:1], v2, off
	global_load_b32 v4, v41, s[12:13] offset:3888
	v_add_nc_u32_e32 v2, 0xe00, v43
	ds_load_2addr_b32 v[2:3], v2 offset0:76 offset1:184
	s_wait_dscnt 0x0
	v_lshrrev_b32_e32 v5, 16, v2
	s_wait_loadcnt 0x0
	v_lshrrev_b32_e32 v6, 16, v4
	s_delay_alu instid0(VALU_DEP_1) | instskip(SKIP_1) | instid1(VALU_DEP_2)
	v_mul_f16_e32 v7, v5, v6
	v_mul_f16_e32 v6, v2, v6
	v_fmac_f16_e32 v7, v2, v4
	s_delay_alu instid0(VALU_DEP_2) | instskip(NEXT) | instid1(VALU_DEP_2)
	v_fma_f16 v2, v4, v5, -v6
	v_cvt_f32_f16_e32 v4, v7
	s_delay_alu instid0(VALU_DEP_2) | instskip(NEXT) | instid1(VALU_DEP_2)
	v_cvt_f32_f16_e32 v2, v2
	v_cvt_f64_f32_e32 v[4:5], v4
	s_delay_alu instid0(VALU_DEP_2) | instskip(NEXT) | instid1(VALU_DEP_2)
	v_cvt_f64_f32_e32 v[6:7], v2
	v_mul_f64_e32 v[4:5], s[8:9], v[4:5]
	s_delay_alu instid0(VALU_DEP_2) | instskip(NEXT) | instid1(VALU_DEP_2)
	v_mul_f64_e32 v[6:7], s[8:9], v[6:7]
	v_and_or_b32 v2, 0x1ff, v5, v4
	s_delay_alu instid0(VALU_DEP_2)
	v_and_or_b32 v6, 0x1ff, v7, v6
	v_lshrrev_b32_e32 v4, 8, v5
	v_bfe_u32 v8, v5, 20, 11
	v_lshrrev_b32_e32 v9, 8, v7
	v_cmp_ne_u32_e32 vcc_lo, 0, v2
	v_bfe_u32 v10, v7, 20, 11
	v_lshrrev_b32_e32 v5, 16, v5
	v_sub_nc_u32_e32 v11, 0x3f1, v8
	v_add_nc_u32_e32 v8, 0xfffffc10, v8
	s_wait_alu 0xfffd
	v_cndmask_b32_e64 v2, 0, 1, vcc_lo
	v_cmp_ne_u32_e32 vcc_lo, 0, v6
	v_lshrrev_b32_e32 v7, 16, v7
	s_delay_alu instid0(VALU_DEP_3) | instskip(SKIP_4) | instid1(VALU_DEP_3)
	v_and_or_b32 v2, 0xffe, v4, v2
	s_wait_alu 0xfffd
	v_cndmask_b32_e64 v6, 0, 1, vcc_lo
	v_sub_nc_u32_e32 v4, 0x3f1, v10
	v_add_nc_u32_e32 v10, 0xfffffc10, v10
	v_and_or_b32 v6, 0xffe, v9, v6
	v_med3_i32 v9, v11, 0, 13
	v_or_b32_e32 v11, 0x1000, v2
	v_med3_i32 v4, v4, 0, 13
	s_delay_alu instid0(VALU_DEP_4) | instskip(NEXT) | instid1(VALU_DEP_3)
	v_or_b32_e32 v12, 0x1000, v6
	v_lshrrev_b32_e32 v13, v9, v11
	s_delay_alu instid0(VALU_DEP_2) | instskip(NEXT) | instid1(VALU_DEP_2)
	v_lshrrev_b32_e32 v14, v4, v12
	v_lshlrev_b32_e32 v9, v9, v13
	s_delay_alu instid0(VALU_DEP_2) | instskip(NEXT) | instid1(VALU_DEP_2)
	v_lshlrev_b32_e32 v4, v4, v14
	v_cmp_ne_u32_e32 vcc_lo, v9, v11
	v_lshl_or_b32 v11, v8, 12, v2
	s_wait_alu 0xfffd
	v_cndmask_b32_e64 v9, 0, 1, vcc_lo
	v_cmp_ne_u32_e32 vcc_lo, v4, v12
	v_lshl_or_b32 v12, v10, 12, v6
	s_delay_alu instid0(VALU_DEP_3) | instskip(SKIP_3) | instid1(VALU_DEP_2)
	v_or_b32_e32 v9, v13, v9
	s_wait_alu 0xfffd
	v_cndmask_b32_e64 v4, 0, 1, vcc_lo
	v_cmp_gt_i32_e32 vcc_lo, 1, v8
	v_or_b32_e32 v4, v14, v4
	s_wait_alu 0xfffd
	v_cndmask_b32_e32 v9, v11, v9, vcc_lo
	v_cmp_gt_i32_e32 vcc_lo, 1, v10
	s_wait_alu 0xfffd
	s_delay_alu instid0(VALU_DEP_2) | instskip(SKIP_2) | instid1(VALU_DEP_3)
	v_dual_cndmask_b32 v4, v12, v4 :: v_dual_and_b32 v11, 7, v9
	v_cmp_ne_u32_e32 vcc_lo, 0, v2
	v_lshrrev_b32_e32 v9, 2, v9
	v_cmp_eq_u32_e64 s0, 3, v11
	s_delay_alu instid0(VALU_DEP_4)
	v_and_b32_e32 v12, 7, v4
	s_wait_alu 0xfffd
	v_cndmask_b32_e64 v2, 0, 1, vcc_lo
	v_cmp_ne_u32_e32 vcc_lo, 0, v6
	v_lshrrev_b32_e32 v4, 2, v4
	v_cmp_lt_i32_e64 s1, 5, v12
	v_cmp_eq_u32_e64 s2, 3, v12
	s_wait_alu 0xfffd
	v_cndmask_b32_e64 v6, 0, 1, vcc_lo
	v_cmp_lt_i32_e32 vcc_lo, 5, v11
	v_lshl_or_b32 v2, v2, 9, 0x7c00
	s_delay_alu instid0(VALU_DEP_3)
	v_lshl_or_b32 v6, v6, 9, 0x7c00
	s_or_b32 vcc_lo, s0, vcc_lo
	s_wait_alu 0xfffe
	v_add_co_ci_u32_e32 v9, vcc_lo, 0, v9, vcc_lo
	s_or_b32 vcc_lo, s2, s1
	s_wait_alu 0xfffe
	v_add_co_ci_u32_e32 v4, vcc_lo, 0, v4, vcc_lo
	v_cmp_gt_i32_e32 vcc_lo, 31, v8
	s_wait_alu 0xfffd
	v_cndmask_b32_e32 v9, 0x7c00, v9, vcc_lo
	v_cmp_gt_i32_e32 vcc_lo, 31, v10
	s_wait_alu 0xfffd
	v_cndmask_b32_e32 v4, 0x7c00, v4, vcc_lo
	v_cmp_eq_u32_e32 vcc_lo, 0x40f, v8
	s_wait_alu 0xfffd
	v_cndmask_b32_e32 v2, v9, v2, vcc_lo
	v_cmp_eq_u32_e32 vcc_lo, 0x40f, v10
	s_delay_alu instid0(VALU_DEP_2)
	v_and_or_b32 v2, 0x8000, v5, v2
	s_wait_alu 0xfffd
	v_cndmask_b32_e32 v4, v4, v6, vcc_lo
	v_add_co_u32 v0, vcc_lo, v0, s4
	s_wait_alu 0xfffd
	v_add_co_ci_u32_e32 v1, vcc_lo, s5, v1, vcc_lo
	s_delay_alu instid0(VALU_DEP_3) | instskip(SKIP_1) | instid1(VALU_DEP_1)
	v_and_or_b32 v4, 0x8000, v7, v4
	v_and_b32_e32 v2, 0xffff, v2
	v_lshl_or_b32 v2, v4, 16, v2
	v_lshrrev_b32_e32 v4, 16, v3
	global_store_b32 v[0:1], v2, off
	global_load_b32 v2, v41, s[12:13] offset:4320
	s_wait_loadcnt 0x0
	v_lshrrev_b32_e32 v5, 16, v2
	s_delay_alu instid0(VALU_DEP_1) | instskip(SKIP_1) | instid1(VALU_DEP_2)
	v_mul_f16_e32 v6, v4, v5
	v_mul_f16_e32 v5, v3, v5
	v_fmac_f16_e32 v6, v3, v2
	s_delay_alu instid0(VALU_DEP_2) | instskip(NEXT) | instid1(VALU_DEP_2)
	v_fma_f16 v2, v2, v4, -v5
	v_cvt_f32_f16_e32 v3, v6
	s_delay_alu instid0(VALU_DEP_2) | instskip(NEXT) | instid1(VALU_DEP_2)
	v_cvt_f32_f16_e32 v4, v2
	v_cvt_f64_f32_e32 v[2:3], v3
	s_delay_alu instid0(VALU_DEP_2) | instskip(NEXT) | instid1(VALU_DEP_2)
	v_cvt_f64_f32_e32 v[4:5], v4
	v_mul_f64_e32 v[2:3], s[8:9], v[2:3]
	s_delay_alu instid0(VALU_DEP_2) | instskip(NEXT) | instid1(VALU_DEP_2)
	v_mul_f64_e32 v[4:5], s[8:9], v[4:5]
	v_and_or_b32 v2, 0x1ff, v3, v2
	s_delay_alu instid0(VALU_DEP_2)
	v_and_or_b32 v4, 0x1ff, v5, v4
	v_lshrrev_b32_e32 v6, 8, v3
	v_bfe_u32 v7, v3, 20, 11
	v_lshrrev_b32_e32 v8, 8, v5
	v_cmp_ne_u32_e32 vcc_lo, 0, v2
	v_bfe_u32 v9, v5, 20, 11
	v_lshrrev_b32_e32 v3, 16, v3
	v_sub_nc_u32_e32 v10, 0x3f1, v7
	v_add_nc_u32_e32 v7, 0xfffffc10, v7
	s_wait_alu 0xfffd
	v_cndmask_b32_e64 v2, 0, 1, vcc_lo
	v_cmp_ne_u32_e32 vcc_lo, 0, v4
	v_lshrrev_b32_e32 v5, 16, v5
	s_delay_alu instid0(VALU_DEP_3) | instskip(SKIP_4) | instid1(VALU_DEP_3)
	v_and_or_b32 v2, 0xffe, v6, v2
	s_wait_alu 0xfffd
	v_cndmask_b32_e64 v4, 0, 1, vcc_lo
	v_sub_nc_u32_e32 v6, 0x3f1, v9
	v_add_nc_u32_e32 v9, 0xfffffc10, v9
	v_and_or_b32 v4, 0xffe, v8, v4
	v_med3_i32 v8, v10, 0, 13
	v_or_b32_e32 v10, 0x1000, v2
	v_med3_i32 v6, v6, 0, 13
	s_delay_alu instid0(VALU_DEP_4) | instskip(NEXT) | instid1(VALU_DEP_3)
	v_or_b32_e32 v11, 0x1000, v4
	v_lshrrev_b32_e32 v12, v8, v10
	s_delay_alu instid0(VALU_DEP_2) | instskip(NEXT) | instid1(VALU_DEP_2)
	v_lshrrev_b32_e32 v13, v6, v11
	v_lshlrev_b32_e32 v8, v8, v12
	s_delay_alu instid0(VALU_DEP_2) | instskip(NEXT) | instid1(VALU_DEP_2)
	v_lshlrev_b32_e32 v6, v6, v13
	v_cmp_ne_u32_e32 vcc_lo, v8, v10
	v_lshl_or_b32 v10, v7, 12, v2
	s_wait_alu 0xfffd
	v_cndmask_b32_e64 v8, 0, 1, vcc_lo
	v_cmp_ne_u32_e32 vcc_lo, v6, v11
	v_lshl_or_b32 v11, v9, 12, v4
	s_delay_alu instid0(VALU_DEP_3) | instskip(SKIP_3) | instid1(VALU_DEP_2)
	v_or_b32_e32 v8, v12, v8
	s_wait_alu 0xfffd
	v_cndmask_b32_e64 v6, 0, 1, vcc_lo
	v_cmp_gt_i32_e32 vcc_lo, 1, v7
	v_or_b32_e32 v6, v13, v6
	s_wait_alu 0xfffd
	v_cndmask_b32_e32 v8, v10, v8, vcc_lo
	v_cmp_gt_i32_e32 vcc_lo, 1, v9
	s_delay_alu instid0(VALU_DEP_2)
	v_and_b32_e32 v10, 7, v8
	s_wait_alu 0xfffd
	v_cndmask_b32_e32 v6, v11, v6, vcc_lo
	v_cmp_ne_u32_e32 vcc_lo, 0, v2
	v_lshrrev_b32_e32 v8, 2, v8
	v_cmp_eq_u32_e64 s0, 3, v10
	s_delay_alu instid0(VALU_DEP_4)
	v_and_b32_e32 v11, 7, v6
	s_wait_alu 0xfffd
	v_cndmask_b32_e64 v2, 0, 1, vcc_lo
	v_cmp_ne_u32_e32 vcc_lo, 0, v4
	v_lshrrev_b32_e32 v6, 2, v6
	v_cmp_lt_i32_e64 s1, 5, v11
	v_cmp_eq_u32_e64 s2, 3, v11
	s_wait_alu 0xfffd
	v_cndmask_b32_e64 v4, 0, 1, vcc_lo
	v_cmp_lt_i32_e32 vcc_lo, 5, v10
	v_lshl_or_b32 v2, v2, 9, 0x7c00
	s_delay_alu instid0(VALU_DEP_3)
	v_lshl_or_b32 v4, v4, 9, 0x7c00
	s_or_b32 vcc_lo, s0, vcc_lo
	s_wait_alu 0xfffe
	v_add_co_ci_u32_e32 v8, vcc_lo, 0, v8, vcc_lo
	s_or_b32 vcc_lo, s2, s1
	s_wait_alu 0xfffe
	v_add_co_ci_u32_e32 v6, vcc_lo, 0, v6, vcc_lo
	v_cmp_gt_i32_e32 vcc_lo, 31, v7
	s_wait_alu 0xfffd
	v_cndmask_b32_e32 v8, 0x7c00, v8, vcc_lo
	v_cmp_gt_i32_e32 vcc_lo, 31, v9
	s_wait_alu 0xfffd
	v_cndmask_b32_e32 v6, 0x7c00, v6, vcc_lo
	v_cmp_eq_u32_e32 vcc_lo, 0x40f, v7
	s_wait_alu 0xfffd
	v_cndmask_b32_e32 v2, v8, v2, vcc_lo
	v_cmp_eq_u32_e32 vcc_lo, 0x40f, v9
	s_delay_alu instid0(VALU_DEP_2)
	v_and_or_b32 v2, 0x8000, v3, v2
	s_wait_alu 0xfffd
	v_cndmask_b32_e32 v4, v6, v4, vcc_lo
	v_add_co_u32 v0, vcc_lo, v0, s4
	s_wait_alu 0xfffd
	v_add_co_ci_u32_e32 v1, vcc_lo, s5, v1, vcc_lo
	s_delay_alu instid0(VALU_DEP_3) | instskip(SKIP_1) | instid1(VALU_DEP_1)
	v_and_or_b32 v3, 0x8000, v5, v4
	v_and_b32_e32 v2, 0xffff, v2
	v_lshl_or_b32 v2, v3, 16, v2
	global_store_b32 v[0:1], v2, off
	global_load_b32 v4, v41, s[12:13] offset:4752
	v_add_nc_u32_e32 v2, 0x1200, v43
	ds_load_2addr_b32 v[2:3], v2 offset0:36 offset1:144
	s_wait_dscnt 0x0
	v_lshrrev_b32_e32 v5, 16, v2
	s_wait_loadcnt 0x0
	v_lshrrev_b32_e32 v6, 16, v4
	s_delay_alu instid0(VALU_DEP_1) | instskip(SKIP_1) | instid1(VALU_DEP_2)
	v_mul_f16_e32 v7, v5, v6
	v_mul_f16_e32 v6, v2, v6
	v_fmac_f16_e32 v7, v2, v4
	s_delay_alu instid0(VALU_DEP_2) | instskip(NEXT) | instid1(VALU_DEP_2)
	v_fma_f16 v2, v4, v5, -v6
	v_cvt_f32_f16_e32 v4, v7
	s_delay_alu instid0(VALU_DEP_2) | instskip(NEXT) | instid1(VALU_DEP_2)
	v_cvt_f32_f16_e32 v2, v2
	v_cvt_f64_f32_e32 v[4:5], v4
	s_delay_alu instid0(VALU_DEP_2) | instskip(NEXT) | instid1(VALU_DEP_2)
	v_cvt_f64_f32_e32 v[6:7], v2
	v_mul_f64_e32 v[4:5], s[8:9], v[4:5]
	s_delay_alu instid0(VALU_DEP_2) | instskip(NEXT) | instid1(VALU_DEP_2)
	v_mul_f64_e32 v[6:7], s[8:9], v[6:7]
	v_and_or_b32 v2, 0x1ff, v5, v4
	s_delay_alu instid0(VALU_DEP_2)
	v_and_or_b32 v6, 0x1ff, v7, v6
	v_lshrrev_b32_e32 v4, 8, v5
	v_bfe_u32 v8, v5, 20, 11
	v_lshrrev_b32_e32 v9, 8, v7
	v_cmp_ne_u32_e32 vcc_lo, 0, v2
	v_bfe_u32 v10, v7, 20, 11
	v_lshrrev_b32_e32 v5, 16, v5
	v_sub_nc_u32_e32 v11, 0x3f1, v8
	v_add_nc_u32_e32 v8, 0xfffffc10, v8
	s_wait_alu 0xfffd
	v_cndmask_b32_e64 v2, 0, 1, vcc_lo
	v_cmp_ne_u32_e32 vcc_lo, 0, v6
	v_lshrrev_b32_e32 v7, 16, v7
	s_delay_alu instid0(VALU_DEP_3) | instskip(SKIP_4) | instid1(VALU_DEP_3)
	v_and_or_b32 v2, 0xffe, v4, v2
	s_wait_alu 0xfffd
	v_cndmask_b32_e64 v6, 0, 1, vcc_lo
	v_sub_nc_u32_e32 v4, 0x3f1, v10
	v_add_nc_u32_e32 v10, 0xfffffc10, v10
	v_and_or_b32 v6, 0xffe, v9, v6
	v_med3_i32 v9, v11, 0, 13
	v_or_b32_e32 v11, 0x1000, v2
	v_med3_i32 v4, v4, 0, 13
	s_delay_alu instid0(VALU_DEP_4) | instskip(NEXT) | instid1(VALU_DEP_3)
	v_or_b32_e32 v12, 0x1000, v6
	v_lshrrev_b32_e32 v13, v9, v11
	s_delay_alu instid0(VALU_DEP_2) | instskip(NEXT) | instid1(VALU_DEP_2)
	v_lshrrev_b32_e32 v14, v4, v12
	v_lshlrev_b32_e32 v9, v9, v13
	s_delay_alu instid0(VALU_DEP_2) | instskip(NEXT) | instid1(VALU_DEP_2)
	v_lshlrev_b32_e32 v4, v4, v14
	v_cmp_ne_u32_e32 vcc_lo, v9, v11
	v_lshl_or_b32 v11, v8, 12, v2
	s_wait_alu 0xfffd
	v_cndmask_b32_e64 v9, 0, 1, vcc_lo
	v_cmp_ne_u32_e32 vcc_lo, v4, v12
	v_lshl_or_b32 v12, v10, 12, v6
	s_delay_alu instid0(VALU_DEP_3) | instskip(SKIP_3) | instid1(VALU_DEP_2)
	v_or_b32_e32 v9, v13, v9
	s_wait_alu 0xfffd
	v_cndmask_b32_e64 v4, 0, 1, vcc_lo
	v_cmp_gt_i32_e32 vcc_lo, 1, v8
	v_or_b32_e32 v4, v14, v4
	s_wait_alu 0xfffd
	v_cndmask_b32_e32 v9, v11, v9, vcc_lo
	v_cmp_gt_i32_e32 vcc_lo, 1, v10
	s_wait_alu 0xfffd
	s_delay_alu instid0(VALU_DEP_2) | instskip(SKIP_2) | instid1(VALU_DEP_3)
	v_dual_cndmask_b32 v4, v12, v4 :: v_dual_and_b32 v11, 7, v9
	v_cmp_ne_u32_e32 vcc_lo, 0, v2
	v_lshrrev_b32_e32 v9, 2, v9
	v_cmp_eq_u32_e64 s0, 3, v11
	s_delay_alu instid0(VALU_DEP_4)
	v_and_b32_e32 v12, 7, v4
	s_wait_alu 0xfffd
	v_cndmask_b32_e64 v2, 0, 1, vcc_lo
	v_cmp_ne_u32_e32 vcc_lo, 0, v6
	v_lshrrev_b32_e32 v4, 2, v4
	v_cmp_lt_i32_e64 s1, 5, v12
	v_cmp_eq_u32_e64 s2, 3, v12
	s_wait_alu 0xfffd
	v_cndmask_b32_e64 v6, 0, 1, vcc_lo
	v_cmp_lt_i32_e32 vcc_lo, 5, v11
	v_lshl_or_b32 v2, v2, 9, 0x7c00
	s_delay_alu instid0(VALU_DEP_3)
	v_lshl_or_b32 v6, v6, 9, 0x7c00
	s_or_b32 vcc_lo, s0, vcc_lo
	s_wait_alu 0xfffe
	v_add_co_ci_u32_e32 v9, vcc_lo, 0, v9, vcc_lo
	s_or_b32 vcc_lo, s2, s1
	s_wait_alu 0xfffe
	v_add_co_ci_u32_e32 v4, vcc_lo, 0, v4, vcc_lo
	v_cmp_gt_i32_e32 vcc_lo, 31, v8
	s_wait_alu 0xfffd
	v_cndmask_b32_e32 v9, 0x7c00, v9, vcc_lo
	v_cmp_gt_i32_e32 vcc_lo, 31, v10
	s_wait_alu 0xfffd
	v_cndmask_b32_e32 v4, 0x7c00, v4, vcc_lo
	v_cmp_eq_u32_e32 vcc_lo, 0x40f, v8
	s_wait_alu 0xfffd
	v_cndmask_b32_e32 v2, v9, v2, vcc_lo
	v_cmp_eq_u32_e32 vcc_lo, 0x40f, v10
	s_delay_alu instid0(VALU_DEP_2)
	v_and_or_b32 v2, 0x8000, v5, v2
	s_wait_alu 0xfffd
	v_cndmask_b32_e32 v4, v4, v6, vcc_lo
	v_add_co_u32 v0, vcc_lo, v0, s4
	s_wait_alu 0xfffd
	v_add_co_ci_u32_e32 v1, vcc_lo, s5, v1, vcc_lo
	s_delay_alu instid0(VALU_DEP_3) | instskip(SKIP_1) | instid1(VALU_DEP_1)
	v_and_or_b32 v4, 0x8000, v7, v4
	v_and_b32_e32 v2, 0xffff, v2
	v_lshl_or_b32 v2, v4, 16, v2
	v_lshrrev_b32_e32 v4, 16, v3
	global_store_b32 v[0:1], v2, off
	global_load_b32 v2, v41, s[12:13] offset:5184
	s_wait_loadcnt 0x0
	v_lshrrev_b32_e32 v5, 16, v2
	s_delay_alu instid0(VALU_DEP_1) | instskip(SKIP_1) | instid1(VALU_DEP_2)
	v_mul_f16_e32 v6, v4, v5
	v_mul_f16_e32 v5, v3, v5
	v_fmac_f16_e32 v6, v3, v2
	s_delay_alu instid0(VALU_DEP_2) | instskip(NEXT) | instid1(VALU_DEP_2)
	v_fma_f16 v2, v2, v4, -v5
	v_cvt_f32_f16_e32 v3, v6
	s_delay_alu instid0(VALU_DEP_2) | instskip(NEXT) | instid1(VALU_DEP_2)
	v_cvt_f32_f16_e32 v4, v2
	v_cvt_f64_f32_e32 v[2:3], v3
	s_delay_alu instid0(VALU_DEP_2) | instskip(NEXT) | instid1(VALU_DEP_2)
	v_cvt_f64_f32_e32 v[4:5], v4
	v_mul_f64_e32 v[2:3], s[8:9], v[2:3]
	s_delay_alu instid0(VALU_DEP_2) | instskip(NEXT) | instid1(VALU_DEP_2)
	v_mul_f64_e32 v[4:5], s[8:9], v[4:5]
	v_and_or_b32 v2, 0x1ff, v3, v2
	s_delay_alu instid0(VALU_DEP_2)
	v_and_or_b32 v4, 0x1ff, v5, v4
	v_lshrrev_b32_e32 v6, 8, v3
	v_bfe_u32 v7, v3, 20, 11
	v_lshrrev_b32_e32 v8, 8, v5
	v_cmp_ne_u32_e32 vcc_lo, 0, v2
	v_bfe_u32 v9, v5, 20, 11
	v_lshrrev_b32_e32 v3, 16, v3
	v_sub_nc_u32_e32 v10, 0x3f1, v7
	v_add_nc_u32_e32 v7, 0xfffffc10, v7
	s_wait_alu 0xfffd
	v_cndmask_b32_e64 v2, 0, 1, vcc_lo
	v_cmp_ne_u32_e32 vcc_lo, 0, v4
	v_lshrrev_b32_e32 v5, 16, v5
	s_delay_alu instid0(VALU_DEP_3) | instskip(SKIP_4) | instid1(VALU_DEP_3)
	v_and_or_b32 v2, 0xffe, v6, v2
	s_wait_alu 0xfffd
	v_cndmask_b32_e64 v4, 0, 1, vcc_lo
	v_sub_nc_u32_e32 v6, 0x3f1, v9
	v_add_nc_u32_e32 v9, 0xfffffc10, v9
	v_and_or_b32 v4, 0xffe, v8, v4
	v_med3_i32 v8, v10, 0, 13
	v_or_b32_e32 v10, 0x1000, v2
	v_med3_i32 v6, v6, 0, 13
	s_delay_alu instid0(VALU_DEP_4) | instskip(NEXT) | instid1(VALU_DEP_3)
	v_or_b32_e32 v11, 0x1000, v4
	v_lshrrev_b32_e32 v12, v8, v10
	s_delay_alu instid0(VALU_DEP_2) | instskip(NEXT) | instid1(VALU_DEP_2)
	v_lshrrev_b32_e32 v13, v6, v11
	v_lshlrev_b32_e32 v8, v8, v12
	s_delay_alu instid0(VALU_DEP_2) | instskip(NEXT) | instid1(VALU_DEP_2)
	v_lshlrev_b32_e32 v6, v6, v13
	v_cmp_ne_u32_e32 vcc_lo, v8, v10
	v_lshl_or_b32 v10, v7, 12, v2
	s_wait_alu 0xfffd
	v_cndmask_b32_e64 v8, 0, 1, vcc_lo
	v_cmp_ne_u32_e32 vcc_lo, v6, v11
	v_lshl_or_b32 v11, v9, 12, v4
	s_delay_alu instid0(VALU_DEP_3) | instskip(SKIP_3) | instid1(VALU_DEP_2)
	v_or_b32_e32 v8, v12, v8
	s_wait_alu 0xfffd
	v_cndmask_b32_e64 v6, 0, 1, vcc_lo
	v_cmp_gt_i32_e32 vcc_lo, 1, v7
	v_or_b32_e32 v6, v13, v6
	s_wait_alu 0xfffd
	v_cndmask_b32_e32 v8, v10, v8, vcc_lo
	v_cmp_gt_i32_e32 vcc_lo, 1, v9
	s_delay_alu instid0(VALU_DEP_2)
	v_and_b32_e32 v10, 7, v8
	s_wait_alu 0xfffd
	v_cndmask_b32_e32 v6, v11, v6, vcc_lo
	v_cmp_ne_u32_e32 vcc_lo, 0, v2
	v_lshrrev_b32_e32 v8, 2, v8
	v_cmp_eq_u32_e64 s0, 3, v10
	s_delay_alu instid0(VALU_DEP_4)
	v_and_b32_e32 v11, 7, v6
	s_wait_alu 0xfffd
	v_cndmask_b32_e64 v2, 0, 1, vcc_lo
	v_cmp_ne_u32_e32 vcc_lo, 0, v4
	v_lshrrev_b32_e32 v6, 2, v6
	v_cmp_lt_i32_e64 s1, 5, v11
	v_cmp_eq_u32_e64 s2, 3, v11
	s_wait_alu 0xfffd
	v_cndmask_b32_e64 v4, 0, 1, vcc_lo
	v_cmp_lt_i32_e32 vcc_lo, 5, v10
	v_lshl_or_b32 v2, v2, 9, 0x7c00
	s_delay_alu instid0(VALU_DEP_3)
	v_lshl_or_b32 v4, v4, 9, 0x7c00
	s_or_b32 vcc_lo, s0, vcc_lo
	s_wait_alu 0xfffe
	v_add_co_ci_u32_e32 v8, vcc_lo, 0, v8, vcc_lo
	s_or_b32 vcc_lo, s2, s1
	s_wait_alu 0xfffe
	v_add_co_ci_u32_e32 v6, vcc_lo, 0, v6, vcc_lo
	v_cmp_gt_i32_e32 vcc_lo, 31, v7
	s_wait_alu 0xfffd
	v_cndmask_b32_e32 v8, 0x7c00, v8, vcc_lo
	v_cmp_gt_i32_e32 vcc_lo, 31, v9
	s_wait_alu 0xfffd
	v_cndmask_b32_e32 v6, 0x7c00, v6, vcc_lo
	v_cmp_eq_u32_e32 vcc_lo, 0x40f, v7
	s_wait_alu 0xfffd
	v_cndmask_b32_e32 v2, v8, v2, vcc_lo
	v_cmp_eq_u32_e32 vcc_lo, 0x40f, v9
	s_delay_alu instid0(VALU_DEP_2)
	v_and_or_b32 v2, 0x8000, v3, v2
	s_wait_alu 0xfffd
	v_cndmask_b32_e32 v4, v6, v4, vcc_lo
	v_add_co_u32 v0, vcc_lo, v0, s4
	s_wait_alu 0xfffd
	v_add_co_ci_u32_e32 v1, vcc_lo, s5, v1, vcc_lo
	s_delay_alu instid0(VALU_DEP_3) | instskip(SKIP_1) | instid1(VALU_DEP_1)
	v_and_or_b32 v3, 0x8000, v5, v4
	v_and_b32_e32 v2, 0xffff, v2
	v_lshl_or_b32 v2, v3, 16, v2
	global_store_b32 v[0:1], v2, off
	global_load_b32 v4, v41, s[12:13] offset:5616
	v_add_nc_u32_e32 v2, 0x1400, v43
	ds_load_2addr_b32 v[2:3], v2 offset0:124 offset1:232
	s_wait_dscnt 0x0
	v_lshrrev_b32_e32 v5, 16, v2
	s_wait_loadcnt 0x0
	v_lshrrev_b32_e32 v6, 16, v4
	s_delay_alu instid0(VALU_DEP_1) | instskip(SKIP_1) | instid1(VALU_DEP_2)
	v_mul_f16_e32 v7, v5, v6
	v_mul_f16_e32 v6, v2, v6
	v_fmac_f16_e32 v7, v2, v4
	s_delay_alu instid0(VALU_DEP_2) | instskip(NEXT) | instid1(VALU_DEP_2)
	v_fma_f16 v2, v4, v5, -v6
	v_cvt_f32_f16_e32 v4, v7
	s_delay_alu instid0(VALU_DEP_2) | instskip(NEXT) | instid1(VALU_DEP_2)
	v_cvt_f32_f16_e32 v2, v2
	v_cvt_f64_f32_e32 v[4:5], v4
	s_delay_alu instid0(VALU_DEP_2) | instskip(NEXT) | instid1(VALU_DEP_2)
	v_cvt_f64_f32_e32 v[6:7], v2
	v_mul_f64_e32 v[4:5], s[8:9], v[4:5]
	s_delay_alu instid0(VALU_DEP_2) | instskip(NEXT) | instid1(VALU_DEP_2)
	v_mul_f64_e32 v[6:7], s[8:9], v[6:7]
	v_and_or_b32 v2, 0x1ff, v5, v4
	s_delay_alu instid0(VALU_DEP_2)
	v_and_or_b32 v6, 0x1ff, v7, v6
	v_lshrrev_b32_e32 v4, 8, v5
	v_bfe_u32 v8, v5, 20, 11
	v_lshrrev_b32_e32 v9, 8, v7
	v_cmp_ne_u32_e32 vcc_lo, 0, v2
	v_bfe_u32 v10, v7, 20, 11
	v_lshrrev_b32_e32 v5, 16, v5
	v_sub_nc_u32_e32 v11, 0x3f1, v8
	v_add_nc_u32_e32 v8, 0xfffffc10, v8
	s_wait_alu 0xfffd
	v_cndmask_b32_e64 v2, 0, 1, vcc_lo
	v_cmp_ne_u32_e32 vcc_lo, 0, v6
	v_lshrrev_b32_e32 v7, 16, v7
	s_delay_alu instid0(VALU_DEP_3) | instskip(SKIP_4) | instid1(VALU_DEP_3)
	v_and_or_b32 v2, 0xffe, v4, v2
	s_wait_alu 0xfffd
	v_cndmask_b32_e64 v6, 0, 1, vcc_lo
	v_sub_nc_u32_e32 v4, 0x3f1, v10
	v_add_nc_u32_e32 v10, 0xfffffc10, v10
	v_and_or_b32 v6, 0xffe, v9, v6
	v_med3_i32 v9, v11, 0, 13
	v_or_b32_e32 v11, 0x1000, v2
	v_med3_i32 v4, v4, 0, 13
	s_delay_alu instid0(VALU_DEP_4) | instskip(NEXT) | instid1(VALU_DEP_3)
	v_or_b32_e32 v12, 0x1000, v6
	v_lshrrev_b32_e32 v13, v9, v11
	s_delay_alu instid0(VALU_DEP_2) | instskip(NEXT) | instid1(VALU_DEP_2)
	v_lshrrev_b32_e32 v14, v4, v12
	v_lshlrev_b32_e32 v9, v9, v13
	s_delay_alu instid0(VALU_DEP_2) | instskip(NEXT) | instid1(VALU_DEP_2)
	v_lshlrev_b32_e32 v4, v4, v14
	v_cmp_ne_u32_e32 vcc_lo, v9, v11
	v_lshl_or_b32 v11, v8, 12, v2
	s_wait_alu 0xfffd
	v_cndmask_b32_e64 v9, 0, 1, vcc_lo
	v_cmp_ne_u32_e32 vcc_lo, v4, v12
	v_lshl_or_b32 v12, v10, 12, v6
	s_delay_alu instid0(VALU_DEP_3) | instskip(SKIP_3) | instid1(VALU_DEP_2)
	v_or_b32_e32 v9, v13, v9
	s_wait_alu 0xfffd
	v_cndmask_b32_e64 v4, 0, 1, vcc_lo
	v_cmp_gt_i32_e32 vcc_lo, 1, v8
	v_or_b32_e32 v4, v14, v4
	s_wait_alu 0xfffd
	v_cndmask_b32_e32 v9, v11, v9, vcc_lo
	v_cmp_gt_i32_e32 vcc_lo, 1, v10
	s_wait_alu 0xfffd
	s_delay_alu instid0(VALU_DEP_2) | instskip(SKIP_2) | instid1(VALU_DEP_3)
	v_dual_cndmask_b32 v4, v12, v4 :: v_dual_and_b32 v11, 7, v9
	v_cmp_ne_u32_e32 vcc_lo, 0, v2
	v_lshrrev_b32_e32 v9, 2, v9
	v_cmp_eq_u32_e64 s0, 3, v11
	s_delay_alu instid0(VALU_DEP_4)
	v_and_b32_e32 v12, 7, v4
	s_wait_alu 0xfffd
	v_cndmask_b32_e64 v2, 0, 1, vcc_lo
	v_cmp_ne_u32_e32 vcc_lo, 0, v6
	v_lshrrev_b32_e32 v4, 2, v4
	v_cmp_lt_i32_e64 s1, 5, v12
	v_cmp_eq_u32_e64 s2, 3, v12
	s_wait_alu 0xfffd
	v_cndmask_b32_e64 v6, 0, 1, vcc_lo
	v_cmp_lt_i32_e32 vcc_lo, 5, v11
	v_lshl_or_b32 v2, v2, 9, 0x7c00
	s_delay_alu instid0(VALU_DEP_3)
	v_lshl_or_b32 v6, v6, 9, 0x7c00
	s_or_b32 vcc_lo, s0, vcc_lo
	s_wait_alu 0xfffe
	v_add_co_ci_u32_e32 v9, vcc_lo, 0, v9, vcc_lo
	s_or_b32 vcc_lo, s2, s1
	s_wait_alu 0xfffe
	v_add_co_ci_u32_e32 v4, vcc_lo, 0, v4, vcc_lo
	v_cmp_gt_i32_e32 vcc_lo, 31, v8
	s_wait_alu 0xfffd
	v_cndmask_b32_e32 v9, 0x7c00, v9, vcc_lo
	v_cmp_gt_i32_e32 vcc_lo, 31, v10
	s_wait_alu 0xfffd
	v_cndmask_b32_e32 v4, 0x7c00, v4, vcc_lo
	v_cmp_eq_u32_e32 vcc_lo, 0x40f, v8
	s_wait_alu 0xfffd
	v_cndmask_b32_e32 v2, v9, v2, vcc_lo
	v_cmp_eq_u32_e32 vcc_lo, 0x40f, v10
	s_delay_alu instid0(VALU_DEP_2)
	v_and_or_b32 v2, 0x8000, v5, v2
	s_wait_alu 0xfffd
	v_cndmask_b32_e32 v4, v4, v6, vcc_lo
	v_add_co_u32 v0, vcc_lo, v0, s4
	s_wait_alu 0xfffd
	v_add_co_ci_u32_e32 v1, vcc_lo, s5, v1, vcc_lo
	s_delay_alu instid0(VALU_DEP_3) | instskip(SKIP_1) | instid1(VALU_DEP_1)
	v_and_or_b32 v4, 0x8000, v7, v4
	v_and_b32_e32 v2, 0xffff, v2
	v_lshl_or_b32 v2, v4, 16, v2
	v_lshrrev_b32_e32 v4, 16, v3
	global_store_b32 v[0:1], v2, off
	global_load_b32 v2, v41, s[12:13] offset:6048
	s_wait_loadcnt 0x0
	v_lshrrev_b32_e32 v5, 16, v2
	s_delay_alu instid0(VALU_DEP_1) | instskip(SKIP_1) | instid1(VALU_DEP_2)
	v_mul_f16_e32 v6, v4, v5
	v_mul_f16_e32 v5, v3, v5
	v_fmac_f16_e32 v6, v3, v2
	s_delay_alu instid0(VALU_DEP_2) | instskip(NEXT) | instid1(VALU_DEP_2)
	v_fma_f16 v2, v2, v4, -v5
	v_cvt_f32_f16_e32 v3, v6
	s_delay_alu instid0(VALU_DEP_2) | instskip(NEXT) | instid1(VALU_DEP_2)
	v_cvt_f32_f16_e32 v4, v2
	v_cvt_f64_f32_e32 v[2:3], v3
	s_delay_alu instid0(VALU_DEP_2) | instskip(NEXT) | instid1(VALU_DEP_2)
	v_cvt_f64_f32_e32 v[4:5], v4
	v_mul_f64_e32 v[2:3], s[8:9], v[2:3]
	s_delay_alu instid0(VALU_DEP_2) | instskip(NEXT) | instid1(VALU_DEP_2)
	v_mul_f64_e32 v[4:5], s[8:9], v[4:5]
	v_and_or_b32 v2, 0x1ff, v3, v2
	s_delay_alu instid0(VALU_DEP_2)
	v_and_or_b32 v4, 0x1ff, v5, v4
	v_lshrrev_b32_e32 v6, 8, v3
	v_bfe_u32 v7, v3, 20, 11
	v_lshrrev_b32_e32 v8, 8, v5
	v_cmp_ne_u32_e32 vcc_lo, 0, v2
	v_bfe_u32 v9, v5, 20, 11
	v_lshrrev_b32_e32 v3, 16, v3
	v_sub_nc_u32_e32 v10, 0x3f1, v7
	v_add_nc_u32_e32 v7, 0xfffffc10, v7
	s_wait_alu 0xfffd
	v_cndmask_b32_e64 v2, 0, 1, vcc_lo
	v_cmp_ne_u32_e32 vcc_lo, 0, v4
	v_lshrrev_b32_e32 v5, 16, v5
	s_delay_alu instid0(VALU_DEP_3) | instskip(SKIP_4) | instid1(VALU_DEP_3)
	v_and_or_b32 v2, 0xffe, v6, v2
	s_wait_alu 0xfffd
	v_cndmask_b32_e64 v4, 0, 1, vcc_lo
	v_sub_nc_u32_e32 v6, 0x3f1, v9
	v_add_nc_u32_e32 v9, 0xfffffc10, v9
	v_and_or_b32 v4, 0xffe, v8, v4
	v_med3_i32 v8, v10, 0, 13
	v_or_b32_e32 v10, 0x1000, v2
	v_med3_i32 v6, v6, 0, 13
	s_delay_alu instid0(VALU_DEP_4) | instskip(NEXT) | instid1(VALU_DEP_3)
	v_or_b32_e32 v11, 0x1000, v4
	v_lshrrev_b32_e32 v12, v8, v10
	s_delay_alu instid0(VALU_DEP_2) | instskip(NEXT) | instid1(VALU_DEP_2)
	v_lshrrev_b32_e32 v13, v6, v11
	v_lshlrev_b32_e32 v8, v8, v12
	s_delay_alu instid0(VALU_DEP_2) | instskip(NEXT) | instid1(VALU_DEP_2)
	v_lshlrev_b32_e32 v6, v6, v13
	v_cmp_ne_u32_e32 vcc_lo, v8, v10
	v_lshl_or_b32 v10, v7, 12, v2
	s_wait_alu 0xfffd
	v_cndmask_b32_e64 v8, 0, 1, vcc_lo
	v_cmp_ne_u32_e32 vcc_lo, v6, v11
	v_lshl_or_b32 v11, v9, 12, v4
	s_delay_alu instid0(VALU_DEP_3) | instskip(SKIP_3) | instid1(VALU_DEP_2)
	v_or_b32_e32 v8, v12, v8
	s_wait_alu 0xfffd
	v_cndmask_b32_e64 v6, 0, 1, vcc_lo
	v_cmp_gt_i32_e32 vcc_lo, 1, v7
	v_or_b32_e32 v6, v13, v6
	s_wait_alu 0xfffd
	v_cndmask_b32_e32 v8, v10, v8, vcc_lo
	v_cmp_gt_i32_e32 vcc_lo, 1, v9
	s_delay_alu instid0(VALU_DEP_2)
	v_and_b32_e32 v10, 7, v8
	s_wait_alu 0xfffd
	v_cndmask_b32_e32 v6, v11, v6, vcc_lo
	v_cmp_ne_u32_e32 vcc_lo, 0, v2
	v_lshrrev_b32_e32 v8, 2, v8
	v_cmp_eq_u32_e64 s0, 3, v10
	s_delay_alu instid0(VALU_DEP_4)
	v_and_b32_e32 v11, 7, v6
	s_wait_alu 0xfffd
	v_cndmask_b32_e64 v2, 0, 1, vcc_lo
	v_cmp_ne_u32_e32 vcc_lo, 0, v4
	v_lshrrev_b32_e32 v6, 2, v6
	v_cmp_lt_i32_e64 s1, 5, v11
	v_cmp_eq_u32_e64 s2, 3, v11
	s_wait_alu 0xfffd
	v_cndmask_b32_e64 v4, 0, 1, vcc_lo
	v_cmp_lt_i32_e32 vcc_lo, 5, v10
	v_lshl_or_b32 v2, v2, 9, 0x7c00
	s_delay_alu instid0(VALU_DEP_3)
	v_lshl_or_b32 v4, v4, 9, 0x7c00
	s_or_b32 vcc_lo, s0, vcc_lo
	s_wait_alu 0xfffe
	v_add_co_ci_u32_e32 v8, vcc_lo, 0, v8, vcc_lo
	s_or_b32 vcc_lo, s2, s1
	s_wait_alu 0xfffe
	v_add_co_ci_u32_e32 v6, vcc_lo, 0, v6, vcc_lo
	v_cmp_gt_i32_e32 vcc_lo, 31, v7
	s_wait_alu 0xfffd
	v_cndmask_b32_e32 v8, 0x7c00, v8, vcc_lo
	v_cmp_gt_i32_e32 vcc_lo, 31, v9
	s_wait_alu 0xfffd
	v_cndmask_b32_e32 v6, 0x7c00, v6, vcc_lo
	v_cmp_eq_u32_e32 vcc_lo, 0x40f, v7
	s_wait_alu 0xfffd
	v_cndmask_b32_e32 v2, v8, v2, vcc_lo
	v_cmp_eq_u32_e32 vcc_lo, 0x40f, v9
	s_delay_alu instid0(VALU_DEP_2)
	v_and_or_b32 v2, 0x8000, v3, v2
	s_wait_alu 0xfffd
	v_cndmask_b32_e32 v4, v6, v4, vcc_lo
	v_add_co_u32 v0, vcc_lo, v0, s4
	s_wait_alu 0xfffd
	v_add_co_ci_u32_e32 v1, vcc_lo, s5, v1, vcc_lo
	s_delay_alu instid0(VALU_DEP_3) | instskip(SKIP_1) | instid1(VALU_DEP_1)
	v_and_or_b32 v3, 0x8000, v5, v4
	v_and_b32_e32 v2, 0xffff, v2
	v_lshl_or_b32 v2, v3, 16, v2
	global_store_b32 v[0:1], v2, off
	global_load_b32 v4, v41, s[12:13] offset:6480
	v_add_nc_u32_e32 v2, 0x1800, v43
	ds_load_2addr_b32 v[2:3], v2 offset0:84 offset1:192
	s_wait_dscnt 0x0
	v_lshrrev_b32_e32 v5, 16, v2
	s_wait_loadcnt 0x0
	v_lshrrev_b32_e32 v6, 16, v4
	s_delay_alu instid0(VALU_DEP_1) | instskip(SKIP_1) | instid1(VALU_DEP_2)
	v_mul_f16_e32 v7, v5, v6
	v_mul_f16_e32 v6, v2, v6
	v_fmac_f16_e32 v7, v2, v4
	s_delay_alu instid0(VALU_DEP_2) | instskip(NEXT) | instid1(VALU_DEP_2)
	v_fma_f16 v2, v4, v5, -v6
	v_cvt_f32_f16_e32 v4, v7
	s_delay_alu instid0(VALU_DEP_2) | instskip(NEXT) | instid1(VALU_DEP_2)
	v_cvt_f32_f16_e32 v2, v2
	v_cvt_f64_f32_e32 v[4:5], v4
	s_delay_alu instid0(VALU_DEP_2) | instskip(NEXT) | instid1(VALU_DEP_2)
	v_cvt_f64_f32_e32 v[6:7], v2
	v_mul_f64_e32 v[4:5], s[8:9], v[4:5]
	s_delay_alu instid0(VALU_DEP_2) | instskip(NEXT) | instid1(VALU_DEP_2)
	v_mul_f64_e32 v[6:7], s[8:9], v[6:7]
	v_and_or_b32 v2, 0x1ff, v5, v4
	s_delay_alu instid0(VALU_DEP_2)
	v_and_or_b32 v6, 0x1ff, v7, v6
	v_lshrrev_b32_e32 v4, 8, v5
	v_bfe_u32 v8, v5, 20, 11
	v_lshrrev_b32_e32 v9, 8, v7
	v_cmp_ne_u32_e32 vcc_lo, 0, v2
	v_bfe_u32 v10, v7, 20, 11
	v_lshrrev_b32_e32 v5, 16, v5
	v_sub_nc_u32_e32 v11, 0x3f1, v8
	v_add_nc_u32_e32 v8, 0xfffffc10, v8
	s_wait_alu 0xfffd
	v_cndmask_b32_e64 v2, 0, 1, vcc_lo
	v_cmp_ne_u32_e32 vcc_lo, 0, v6
	v_lshrrev_b32_e32 v7, 16, v7
	s_delay_alu instid0(VALU_DEP_3) | instskip(SKIP_4) | instid1(VALU_DEP_3)
	v_and_or_b32 v2, 0xffe, v4, v2
	s_wait_alu 0xfffd
	v_cndmask_b32_e64 v6, 0, 1, vcc_lo
	v_sub_nc_u32_e32 v4, 0x3f1, v10
	v_add_nc_u32_e32 v10, 0xfffffc10, v10
	v_and_or_b32 v6, 0xffe, v9, v6
	v_med3_i32 v9, v11, 0, 13
	v_or_b32_e32 v11, 0x1000, v2
	v_med3_i32 v4, v4, 0, 13
	s_delay_alu instid0(VALU_DEP_4) | instskip(NEXT) | instid1(VALU_DEP_3)
	v_or_b32_e32 v12, 0x1000, v6
	v_lshrrev_b32_e32 v13, v9, v11
	s_delay_alu instid0(VALU_DEP_2) | instskip(NEXT) | instid1(VALU_DEP_2)
	v_lshrrev_b32_e32 v14, v4, v12
	v_lshlrev_b32_e32 v9, v9, v13
	s_delay_alu instid0(VALU_DEP_2) | instskip(NEXT) | instid1(VALU_DEP_2)
	v_lshlrev_b32_e32 v4, v4, v14
	v_cmp_ne_u32_e32 vcc_lo, v9, v11
	v_lshl_or_b32 v11, v8, 12, v2
	s_wait_alu 0xfffd
	v_cndmask_b32_e64 v9, 0, 1, vcc_lo
	v_cmp_ne_u32_e32 vcc_lo, v4, v12
	v_lshl_or_b32 v12, v10, 12, v6
	s_delay_alu instid0(VALU_DEP_3) | instskip(SKIP_3) | instid1(VALU_DEP_2)
	v_or_b32_e32 v9, v13, v9
	s_wait_alu 0xfffd
	v_cndmask_b32_e64 v4, 0, 1, vcc_lo
	v_cmp_gt_i32_e32 vcc_lo, 1, v8
	v_or_b32_e32 v4, v14, v4
	s_wait_alu 0xfffd
	v_cndmask_b32_e32 v9, v11, v9, vcc_lo
	v_cmp_gt_i32_e32 vcc_lo, 1, v10
	s_wait_alu 0xfffd
	s_delay_alu instid0(VALU_DEP_2) | instskip(SKIP_2) | instid1(VALU_DEP_3)
	v_dual_cndmask_b32 v4, v12, v4 :: v_dual_and_b32 v11, 7, v9
	v_cmp_ne_u32_e32 vcc_lo, 0, v2
	v_lshrrev_b32_e32 v9, 2, v9
	v_cmp_eq_u32_e64 s0, 3, v11
	s_delay_alu instid0(VALU_DEP_4)
	v_and_b32_e32 v12, 7, v4
	s_wait_alu 0xfffd
	v_cndmask_b32_e64 v2, 0, 1, vcc_lo
	v_cmp_ne_u32_e32 vcc_lo, 0, v6
	v_lshrrev_b32_e32 v4, 2, v4
	v_cmp_lt_i32_e64 s1, 5, v12
	v_cmp_eq_u32_e64 s2, 3, v12
	s_wait_alu 0xfffd
	v_cndmask_b32_e64 v6, 0, 1, vcc_lo
	v_cmp_lt_i32_e32 vcc_lo, 5, v11
	v_lshl_or_b32 v2, v2, 9, 0x7c00
	s_delay_alu instid0(VALU_DEP_3)
	v_lshl_or_b32 v6, v6, 9, 0x7c00
	s_or_b32 vcc_lo, s0, vcc_lo
	s_wait_alu 0xfffe
	v_add_co_ci_u32_e32 v9, vcc_lo, 0, v9, vcc_lo
	s_or_b32 vcc_lo, s2, s1
	s_wait_alu 0xfffe
	v_add_co_ci_u32_e32 v4, vcc_lo, 0, v4, vcc_lo
	v_cmp_gt_i32_e32 vcc_lo, 31, v8
	s_wait_alu 0xfffd
	v_cndmask_b32_e32 v9, 0x7c00, v9, vcc_lo
	v_cmp_gt_i32_e32 vcc_lo, 31, v10
	s_wait_alu 0xfffd
	v_cndmask_b32_e32 v4, 0x7c00, v4, vcc_lo
	v_cmp_eq_u32_e32 vcc_lo, 0x40f, v8
	s_wait_alu 0xfffd
	v_cndmask_b32_e32 v2, v9, v2, vcc_lo
	v_cmp_eq_u32_e32 vcc_lo, 0x40f, v10
	s_delay_alu instid0(VALU_DEP_2)
	v_and_or_b32 v2, 0x8000, v5, v2
	s_wait_alu 0xfffd
	v_cndmask_b32_e32 v4, v4, v6, vcc_lo
	v_add_co_u32 v0, vcc_lo, v0, s4
	s_wait_alu 0xfffd
	v_add_co_ci_u32_e32 v1, vcc_lo, s5, v1, vcc_lo
	s_delay_alu instid0(VALU_DEP_3) | instskip(SKIP_1) | instid1(VALU_DEP_1)
	v_and_or_b32 v4, 0x8000, v7, v4
	v_and_b32_e32 v2, 0xffff, v2
	v_lshl_or_b32 v2, v4, 16, v2
	v_lshrrev_b32_e32 v4, 16, v3
	global_store_b32 v[0:1], v2, off
	global_load_b32 v2, v41, s[12:13] offset:6912
	s_wait_loadcnt 0x0
	v_lshrrev_b32_e32 v5, 16, v2
	s_delay_alu instid0(VALU_DEP_1) | instskip(SKIP_1) | instid1(VALU_DEP_2)
	v_mul_f16_e32 v6, v4, v5
	v_mul_f16_e32 v5, v3, v5
	v_fmac_f16_e32 v6, v3, v2
	s_delay_alu instid0(VALU_DEP_2) | instskip(NEXT) | instid1(VALU_DEP_2)
	v_fma_f16 v2, v2, v4, -v5
	v_cvt_f32_f16_e32 v3, v6
	s_delay_alu instid0(VALU_DEP_2) | instskip(NEXT) | instid1(VALU_DEP_2)
	v_cvt_f32_f16_e32 v4, v2
	v_cvt_f64_f32_e32 v[2:3], v3
	s_delay_alu instid0(VALU_DEP_2) | instskip(NEXT) | instid1(VALU_DEP_2)
	v_cvt_f64_f32_e32 v[4:5], v4
	v_mul_f64_e32 v[2:3], s[8:9], v[2:3]
	s_delay_alu instid0(VALU_DEP_2) | instskip(NEXT) | instid1(VALU_DEP_2)
	v_mul_f64_e32 v[4:5], s[8:9], v[4:5]
	v_and_or_b32 v2, 0x1ff, v3, v2
	s_delay_alu instid0(VALU_DEP_2)
	v_and_or_b32 v4, 0x1ff, v5, v4
	v_lshrrev_b32_e32 v6, 8, v3
	v_bfe_u32 v7, v3, 20, 11
	v_lshrrev_b32_e32 v8, 8, v5
	v_cmp_ne_u32_e32 vcc_lo, 0, v2
	v_bfe_u32 v9, v5, 20, 11
	v_lshrrev_b32_e32 v3, 16, v3
	v_sub_nc_u32_e32 v10, 0x3f1, v7
	v_add_nc_u32_e32 v7, 0xfffffc10, v7
	s_wait_alu 0xfffd
	v_cndmask_b32_e64 v2, 0, 1, vcc_lo
	v_cmp_ne_u32_e32 vcc_lo, 0, v4
	v_lshrrev_b32_e32 v5, 16, v5
	s_delay_alu instid0(VALU_DEP_3) | instskip(SKIP_4) | instid1(VALU_DEP_3)
	v_and_or_b32 v2, 0xffe, v6, v2
	s_wait_alu 0xfffd
	v_cndmask_b32_e64 v4, 0, 1, vcc_lo
	v_sub_nc_u32_e32 v6, 0x3f1, v9
	v_add_nc_u32_e32 v9, 0xfffffc10, v9
	v_and_or_b32 v4, 0xffe, v8, v4
	v_med3_i32 v8, v10, 0, 13
	v_or_b32_e32 v10, 0x1000, v2
	v_med3_i32 v6, v6, 0, 13
	s_delay_alu instid0(VALU_DEP_4) | instskip(NEXT) | instid1(VALU_DEP_3)
	v_or_b32_e32 v11, 0x1000, v4
	v_lshrrev_b32_e32 v12, v8, v10
	s_delay_alu instid0(VALU_DEP_2) | instskip(NEXT) | instid1(VALU_DEP_2)
	v_lshrrev_b32_e32 v13, v6, v11
	v_lshlrev_b32_e32 v8, v8, v12
	s_delay_alu instid0(VALU_DEP_2) | instskip(NEXT) | instid1(VALU_DEP_2)
	v_lshlrev_b32_e32 v6, v6, v13
	v_cmp_ne_u32_e32 vcc_lo, v8, v10
	v_lshl_or_b32 v10, v7, 12, v2
	s_wait_alu 0xfffd
	v_cndmask_b32_e64 v8, 0, 1, vcc_lo
	v_cmp_ne_u32_e32 vcc_lo, v6, v11
	v_lshl_or_b32 v11, v9, 12, v4
	s_delay_alu instid0(VALU_DEP_3) | instskip(SKIP_3) | instid1(VALU_DEP_2)
	v_or_b32_e32 v8, v12, v8
	s_wait_alu 0xfffd
	v_cndmask_b32_e64 v6, 0, 1, vcc_lo
	v_cmp_gt_i32_e32 vcc_lo, 1, v7
	v_or_b32_e32 v6, v13, v6
	s_wait_alu 0xfffd
	v_cndmask_b32_e32 v8, v10, v8, vcc_lo
	v_cmp_gt_i32_e32 vcc_lo, 1, v9
	s_delay_alu instid0(VALU_DEP_2)
	v_and_b32_e32 v10, 7, v8
	s_wait_alu 0xfffd
	v_cndmask_b32_e32 v6, v11, v6, vcc_lo
	v_cmp_ne_u32_e32 vcc_lo, 0, v2
	v_lshrrev_b32_e32 v8, 2, v8
	v_cmp_eq_u32_e64 s0, 3, v10
	s_delay_alu instid0(VALU_DEP_4)
	v_and_b32_e32 v11, 7, v6
	s_wait_alu 0xfffd
	v_cndmask_b32_e64 v2, 0, 1, vcc_lo
	v_cmp_ne_u32_e32 vcc_lo, 0, v4
	v_lshrrev_b32_e32 v6, 2, v6
	v_cmp_lt_i32_e64 s1, 5, v11
	v_cmp_eq_u32_e64 s2, 3, v11
	s_wait_alu 0xfffd
	v_cndmask_b32_e64 v4, 0, 1, vcc_lo
	v_cmp_lt_i32_e32 vcc_lo, 5, v10
	v_lshl_or_b32 v2, v2, 9, 0x7c00
	s_delay_alu instid0(VALU_DEP_3)
	v_lshl_or_b32 v4, v4, 9, 0x7c00
	s_or_b32 vcc_lo, s0, vcc_lo
	s_wait_alu 0xfffe
	v_add_co_ci_u32_e32 v8, vcc_lo, 0, v8, vcc_lo
	s_or_b32 vcc_lo, s2, s1
	s_wait_alu 0xfffe
	v_add_co_ci_u32_e32 v6, vcc_lo, 0, v6, vcc_lo
	v_cmp_gt_i32_e32 vcc_lo, 31, v7
	s_wait_alu 0xfffd
	v_cndmask_b32_e32 v8, 0x7c00, v8, vcc_lo
	v_cmp_gt_i32_e32 vcc_lo, 31, v9
	s_wait_alu 0xfffd
	v_cndmask_b32_e32 v6, 0x7c00, v6, vcc_lo
	v_cmp_eq_u32_e32 vcc_lo, 0x40f, v7
	s_wait_alu 0xfffd
	v_cndmask_b32_e32 v2, v8, v2, vcc_lo
	v_cmp_eq_u32_e32 vcc_lo, 0x40f, v9
	s_delay_alu instid0(VALU_DEP_2)
	v_and_or_b32 v2, 0x8000, v3, v2
	s_wait_alu 0xfffd
	v_cndmask_b32_e32 v4, v6, v4, vcc_lo
	v_add_co_u32 v0, vcc_lo, v0, s4
	s_wait_alu 0xfffd
	v_add_co_ci_u32_e32 v1, vcc_lo, s5, v1, vcc_lo
	s_delay_alu instid0(VALU_DEP_3) | instskip(SKIP_1) | instid1(VALU_DEP_1)
	v_and_or_b32 v3, 0x8000, v5, v4
	v_and_b32_e32 v2, 0xffff, v2
	v_lshl_or_b32 v2, v3, 16, v2
	global_store_b32 v[0:1], v2, off
.LBB0_15:
	s_nop 0
	s_sendmsg sendmsg(MSG_DEALLOC_VGPRS)
	s_endpgm
	.section	.rodata,"a",@progbits
	.p2align	6, 0x0
	.amdhsa_kernel bluestein_single_back_len1836_dim1_half_op_CI_CI
		.amdhsa_group_segment_fixed_size 7344
		.amdhsa_private_segment_fixed_size 0
		.amdhsa_kernarg_size 104
		.amdhsa_user_sgpr_count 2
		.amdhsa_user_sgpr_dispatch_ptr 0
		.amdhsa_user_sgpr_queue_ptr 0
		.amdhsa_user_sgpr_kernarg_segment_ptr 1
		.amdhsa_user_sgpr_dispatch_id 0
		.amdhsa_user_sgpr_private_segment_size 0
		.amdhsa_wavefront_size32 1
		.amdhsa_uses_dynamic_stack 0
		.amdhsa_enable_private_segment 0
		.amdhsa_system_sgpr_workgroup_id_x 1
		.amdhsa_system_sgpr_workgroup_id_y 0
		.amdhsa_system_sgpr_workgroup_id_z 0
		.amdhsa_system_sgpr_workgroup_info 0
		.amdhsa_system_vgpr_workitem_id 0
		.amdhsa_next_free_vgpr 233
		.amdhsa_next_free_sgpr 16
		.amdhsa_reserve_vcc 1
		.amdhsa_float_round_mode_32 0
		.amdhsa_float_round_mode_16_64 0
		.amdhsa_float_denorm_mode_32 3
		.amdhsa_float_denorm_mode_16_64 3
		.amdhsa_fp16_overflow 0
		.amdhsa_workgroup_processor_mode 1
		.amdhsa_memory_ordered 1
		.amdhsa_forward_progress 0
		.amdhsa_round_robin_scheduling 0
		.amdhsa_exception_fp_ieee_invalid_op 0
		.amdhsa_exception_fp_denorm_src 0
		.amdhsa_exception_fp_ieee_div_zero 0
		.amdhsa_exception_fp_ieee_overflow 0
		.amdhsa_exception_fp_ieee_underflow 0
		.amdhsa_exception_fp_ieee_inexact 0
		.amdhsa_exception_int_div_zero 0
	.end_amdhsa_kernel
	.text
.Lfunc_end0:
	.size	bluestein_single_back_len1836_dim1_half_op_CI_CI, .Lfunc_end0-bluestein_single_back_len1836_dim1_half_op_CI_CI
                                        ; -- End function
	.section	.AMDGPU.csdata,"",@progbits
; Kernel info:
; codeLenInByte = 36200
; NumSgprs: 18
; NumVgprs: 233
; ScratchSize: 0
; MemoryBound: 0
; FloatMode: 240
; IeeeMode: 1
; LDSByteSize: 7344 bytes/workgroup (compile time only)
; SGPRBlocks: 2
; VGPRBlocks: 29
; NumSGPRsForWavesPerEU: 18
; NumVGPRsForWavesPerEU: 233
; Occupancy: 6
; WaveLimiterHint : 1
; COMPUTE_PGM_RSRC2:SCRATCH_EN: 0
; COMPUTE_PGM_RSRC2:USER_SGPR: 2
; COMPUTE_PGM_RSRC2:TRAP_HANDLER: 0
; COMPUTE_PGM_RSRC2:TGID_X_EN: 1
; COMPUTE_PGM_RSRC2:TGID_Y_EN: 0
; COMPUTE_PGM_RSRC2:TGID_Z_EN: 0
; COMPUTE_PGM_RSRC2:TIDIG_COMP_CNT: 0
	.text
	.p2alignl 7, 3214868480
	.fill 96, 4, 3214868480
	.type	__hip_cuid_d86d1c655a908c3a,@object ; @__hip_cuid_d86d1c655a908c3a
	.section	.bss,"aw",@nobits
	.globl	__hip_cuid_d86d1c655a908c3a
__hip_cuid_d86d1c655a908c3a:
	.byte	0                               ; 0x0
	.size	__hip_cuid_d86d1c655a908c3a, 1

	.ident	"AMD clang version 19.0.0git (https://github.com/RadeonOpenCompute/llvm-project roc-6.4.0 25133 c7fe45cf4b819c5991fe208aaa96edf142730f1d)"
	.section	".note.GNU-stack","",@progbits
	.addrsig
	.addrsig_sym __hip_cuid_d86d1c655a908c3a
	.amdgpu_metadata
---
amdhsa.kernels:
  - .args:
      - .actual_access:  read_only
        .address_space:  global
        .offset:         0
        .size:           8
        .value_kind:     global_buffer
      - .actual_access:  read_only
        .address_space:  global
        .offset:         8
        .size:           8
        .value_kind:     global_buffer
      - .actual_access:  read_only
        .address_space:  global
        .offset:         16
        .size:           8
        .value_kind:     global_buffer
      - .actual_access:  read_only
        .address_space:  global
        .offset:         24
        .size:           8
        .value_kind:     global_buffer
      - .actual_access:  read_only
        .address_space:  global
        .offset:         32
        .size:           8
        .value_kind:     global_buffer
      - .offset:         40
        .size:           8
        .value_kind:     by_value
      - .address_space:  global
        .offset:         48
        .size:           8
        .value_kind:     global_buffer
      - .address_space:  global
        .offset:         56
        .size:           8
        .value_kind:     global_buffer
      - .address_space:  global
        .offset:         64
        .size:           8
        .value_kind:     global_buffer
      - .address_space:  global
        .offset:         72
        .size:           8
        .value_kind:     global_buffer
      - .offset:         80
        .size:           4
        .value_kind:     by_value
      - .address_space:  global
        .offset:         88
        .size:           8
        .value_kind:     global_buffer
      - .address_space:  global
        .offset:         96
        .size:           8
        .value_kind:     global_buffer
    .group_segment_fixed_size: 7344
    .kernarg_segment_align: 8
    .kernarg_segment_size: 104
    .language:       OpenCL C
    .language_version:
      - 2
      - 0
    .max_flat_workgroup_size: 153
    .name:           bluestein_single_back_len1836_dim1_half_op_CI_CI
    .private_segment_fixed_size: 0
    .sgpr_count:     18
    .sgpr_spill_count: 0
    .symbol:         bluestein_single_back_len1836_dim1_half_op_CI_CI.kd
    .uniform_work_group_size: 1
    .uses_dynamic_stack: false
    .vgpr_count:     233
    .vgpr_spill_count: 0
    .wavefront_size: 32
    .workgroup_processor_mode: 1
amdhsa.target:   amdgcn-amd-amdhsa--gfx1201
amdhsa.version:
  - 1
  - 2
...

	.end_amdgpu_metadata
